;; amdgpu-corpus repo=pytorch/pytorch kind=compiled arch=gfx1100 opt=O3
	.text
	.amdgcn_target "amdgcn-amd-amdhsa--gfx1100"
	.amdhsa_code_object_version 6
	.section	.text._ZN2at6native12_GLOBAL__N_137upsample_bicubic2d_out_frame_parallelIddEEviT0_S3_bN5torch10headeronly6detail27GenericPackedTensorAccessorINS6_14TensorAccessorIN3c108ArrayRefIlEEKT_Lm3ENS5_16DefaultPtrTraitsElEENS_6detail16IndexBoundsCheckILm4ElEESD_Lm4ESE_lEENS7_INS8_ISB_SC_Lm3ESE_lEESI_SC_Lm4ESE_lEE,"axG",@progbits,_ZN2at6native12_GLOBAL__N_137upsample_bicubic2d_out_frame_parallelIddEEviT0_S3_bN5torch10headeronly6detail27GenericPackedTensorAccessorINS6_14TensorAccessorIN3c108ArrayRefIlEEKT_Lm3ENS5_16DefaultPtrTraitsElEENS_6detail16IndexBoundsCheckILm4ElEESD_Lm4ESE_lEENS7_INS8_ISB_SC_Lm3ESE_lEESI_SC_Lm4ESE_lEE,comdat
	.globl	_ZN2at6native12_GLOBAL__N_137upsample_bicubic2d_out_frame_parallelIddEEviT0_S3_bN5torch10headeronly6detail27GenericPackedTensorAccessorINS6_14TensorAccessorIN3c108ArrayRefIlEEKT_Lm3ENS5_16DefaultPtrTraitsElEENS_6detail16IndexBoundsCheckILm4ElEESD_Lm4ESE_lEENS7_INS8_ISB_SC_Lm3ESE_lEESI_SC_Lm4ESE_lEE ; -- Begin function _ZN2at6native12_GLOBAL__N_137upsample_bicubic2d_out_frame_parallelIddEEviT0_S3_bN5torch10headeronly6detail27GenericPackedTensorAccessorINS6_14TensorAccessorIN3c108ArrayRefIlEEKT_Lm3ENS5_16DefaultPtrTraitsElEENS_6detail16IndexBoundsCheckILm4ElEESD_Lm4ESE_lEENS7_INS8_ISB_SC_Lm3ESE_lEESI_SC_Lm4ESE_lEE
	.p2align	8
	.type	_ZN2at6native12_GLOBAL__N_137upsample_bicubic2d_out_frame_parallelIddEEviT0_S3_bN5torch10headeronly6detail27GenericPackedTensorAccessorINS6_14TensorAccessorIN3c108ArrayRefIlEEKT_Lm3ENS5_16DefaultPtrTraitsElEENS_6detail16IndexBoundsCheckILm4ElEESD_Lm4ESE_lEENS7_INS8_ISB_SC_Lm3ESE_lEESI_SC_Lm4ESE_lEE,@function
_ZN2at6native12_GLOBAL__N_137upsample_bicubic2d_out_frame_parallelIddEEviT0_S3_bN5torch10headeronly6detail27GenericPackedTensorAccessorINS6_14TensorAccessorIN3c108ArrayRefIlEEKT_Lm3ENS5_16DefaultPtrTraitsElEENS_6detail16IndexBoundsCheckILm4ElEESD_Lm4ESE_lEENS7_INS8_ISB_SC_Lm3ESE_lEESI_SC_Lm4ESE_lEE: ; @_ZN2at6native12_GLOBAL__N_137upsample_bicubic2d_out_frame_parallelIddEEviT0_S3_bN5torch10headeronly6detail27GenericPackedTensorAccessorINS6_14TensorAccessorIN3c108ArrayRefIlEEKT_Lm3ENS5_16DefaultPtrTraitsElEENS_6detail16IndexBoundsCheckILm4ElEESD_Lm4ESE_lEENS7_INS8_ISB_SC_Lm3ESE_lEESI_SC_Lm4ESE_lEE
; %bb.0:
	s_clause 0x1
	s_load_b32 s2, s[0:1], 0xbc
	s_load_b32 s3, s[0:1], 0x0
	s_add_u32 s12, s0, 0xb0
	s_addc_u32 s13, s1, 0
	s_waitcnt lgkmcnt(0)
	s_and_b32 s2, s2, 0xffff
	s_delay_alu instid0(SALU_CYCLE_1) | instskip(SKIP_1) | instid1(VALU_DEP_1)
	v_mad_u64_u32 v[1:2], null, s14, s2, v[0:1]
	s_mov_b32 s2, exec_lo
	v_cmpx_gt_i32_e64 s3, v1
	s_cbranch_execz .LBB0_18
; %bb.1:
	s_load_b128 s[16:19], s[0:1], 0x80
	v_sub_nc_u32_e32 v3, 0, v1
	s_load_b256 s[4:11], s[0:1], 0x28
	s_delay_alu instid0(VALU_DEP_1) | instskip(SKIP_2) | instid1(SALU_CYCLE_1)
	v_max_i32_e32 v3, v1, v3
	s_waitcnt lgkmcnt(0)
	s_abs_i32 s2, s18
	v_cvt_f32_u32_e32 v0, s2
	s_sub_i32 s3, 0, s2
	s_cmp_lg_u32 s8, s16
	s_delay_alu instid0(VALU_DEP_1) | instskip(SKIP_2) | instid1(VALU_DEP_1)
	v_rcp_iflag_f32_e32 v0, v0
	s_waitcnt_depctr 0xfff
	v_mul_f32_e32 v0, 0x4f7ffffe, v0
	v_cvt_u32_f32_e32 v0, v0
	s_delay_alu instid0(VALU_DEP_1) | instskip(SKIP_3) | instid1(SALU_CYCLE_1)
	v_mul_lo_u32 v2, s3, v0
	s_cselect_b32 s3, -1, 0
	s_cmp_lg_u32 s10, s18
	s_cselect_b32 s5, -1, 0
	s_or_b32 s3, s5, s3
	s_mul_i32 s5, s6, s4
	s_delay_alu instid0(VALU_DEP_1) | instskip(NEXT) | instid1(VALU_DEP_1)
	v_mul_hi_u32 v2, v0, v2
	v_add_nc_u32_e32 v0, v0, v2
	s_delay_alu instid0(VALU_DEP_1) | instskip(NEXT) | instid1(VALU_DEP_1)
	v_mul_hi_u32 v0, v3, v0
	v_mul_lo_u32 v2, v0, s2
	s_delay_alu instid0(VALU_DEP_1) | instskip(SKIP_1) | instid1(VALU_DEP_2)
	v_sub_nc_u32_e32 v2, v3, v2
	v_add_nc_u32_e32 v3, 1, v0
	v_subrev_nc_u32_e32 v4, s2, v2
	v_cmp_le_u32_e32 vcc_lo, s2, v2
	s_delay_alu instid0(VALU_DEP_3) | instskip(NEXT) | instid1(VALU_DEP_3)
	v_cndmask_b32_e32 v0, v0, v3, vcc_lo
	v_cndmask_b32_e32 v2, v2, v4, vcc_lo
	v_xor_b32_e32 v3, s18, v1
	s_delay_alu instid0(VALU_DEP_3) | instskip(NEXT) | instid1(VALU_DEP_3)
	v_add_nc_u32_e32 v4, 1, v0
	v_cmp_le_u32_e32 vcc_lo, s2, v2
	s_delay_alu instid0(VALU_DEP_3) | instskip(SKIP_1) | instid1(VALU_DEP_3)
	v_ashrrev_i32_e32 v3, 31, v3
	s_mov_b32 s2, -1
	v_cndmask_b32_e32 v0, v0, v4, vcc_lo
	s_and_b32 vcc_lo, exec_lo, s3
	s_delay_alu instid0(VALU_DEP_1) | instskip(NEXT) | instid1(VALU_DEP_1)
	v_xor_b32_e32 v0, v0, v3
	v_sub_nc_u32_e32 v36, v0, v3
	s_delay_alu instid0(VALU_DEP_1) | instskip(NEXT) | instid1(VALU_DEP_1)
	v_mul_lo_u32 v0, v36, s18
	v_sub_nc_u32_e32 v37, v1, v0
	s_cbranch_vccz .LBB0_14
; %bb.2:
	s_delay_alu instid0(VALU_DEP_1)
	v_cvt_f64_i32_e32 v[2:3], v37
	s_clause 0x1
	s_load_b32 s2, s[0:1], 0x18
	s_load_b128 s[16:19], s[0:1], 0x8
	s_mov_b32 s3, -1
	s_waitcnt lgkmcnt(0)
	s_bitcmp1_b32 s2, 0
	s_cselect_b32 s2, -1, 0
	s_delay_alu instid0(SALU_CYCLE_1) | instskip(NEXT) | instid1(SALU_CYCLE_1)
	s_xor_b32 s2, s2, -1
	s_and_b32 vcc_lo, exec_lo, s2
	s_cbranch_vccz .LBB0_4
; %bb.3:
	s_delay_alu instid0(VALU_DEP_1) | instskip(NEXT) | instid1(VALU_DEP_1)
	v_add_f64 v[0:1], v[2:3], 0.5
	v_fma_f64 v[0:1], v[0:1], s[18:19], -0.5
	s_cbranch_execz .LBB0_5
	s_branch .LBB0_6
.LBB0_4:
                                        ; implicit-def: $vgpr0_vgpr1
	s_and_not1_b32 vcc_lo, exec_lo, s3
	s_cbranch_vccnz .LBB0_6
.LBB0_5:
	s_delay_alu instid0(VALU_DEP_1)
	v_mul_f64 v[0:1], v[2:3], s[18:19]
.LBB0_6:
	v_cvt_f64_i32_e32 v[4:5], v36
	s_and_b32 vcc_lo, exec_lo, s2
	s_cbranch_vccz .LBB0_8
; %bb.7:
	s_delay_alu instid0(VALU_DEP_1) | instskip(NEXT) | instid1(VALU_DEP_1)
	v_add_f64 v[2:3], v[4:5], 0.5
	v_fma_f64 v[2:3], v[2:3], s[16:17], -0.5
	s_cbranch_execz .LBB0_9
	s_branch .LBB0_10
.LBB0_8:
                                        ; implicit-def: $vgpr2_vgpr3
.LBB0_9:
	s_delay_alu instid0(VALU_DEP_1)
	v_mul_f64 v[2:3], v[4:5], s[16:17]
.LBB0_10:
	s_cmp_ge_i32 s15, s5
	s_cbranch_scc1 .LBB0_13
; %bb.11:
	s_delay_alu instid0(VALU_DEP_3) | instskip(NEXT) | instid1(VALU_DEP_2)
	v_cvt_f32_f64_e32 v4, v[0:1]
	v_cvt_f32_f64_e32 v5, v[2:3]
	s_mov_b32 s2, 0
	s_mov_b32 s34, 0
	;; [unrolled: 1-line block ×4, first 2 shown]
	s_clause 0x1
	s_load_b256 s[16:23], s[0:1], 0x90
	s_load_b256 s[24:31], s[0:1], 0x48
	v_ashrrev_i32_e32 v34, 31, v37
	v_ashrrev_i32_e32 v32, 31, v36
	s_abs_i32 s7, s6
	s_delay_alu instid0(SALU_CYCLE_1) | instskip(NEXT) | instid1(VALU_DEP_1)
	v_cvt_f32_u32_e32 v44, s7
	v_rcp_iflag_f32_e32 v56, v44
	s_waitcnt lgkmcnt(0)
	v_mul_lo_u32 v42, s23, v37
	v_mul_lo_u32 v43, s22, v34
	v_mad_u64_u32 v[34:35], null, s22, v37, 0
	v_mul_lo_u32 v40, s21, v36
	v_mul_lo_u32 v41, s20, v32
	v_mad_u64_u32 v[32:33], null, s20, v36, 0
	s_ashr_i32 s20, s6, 31
	s_sub_i32 s22, 0, s6
	s_delay_alu instid0(VALU_DEP_4) | instskip(SKIP_3) | instid1(VALU_DEP_4)
	v_add3_u32 v35, v35, v43, v42
	s_mov_b32 s23, s15
	v_floor_f32_e32 v4, v4
	v_floor_f32_e32 v5, v5
	v_add3_u32 v33, v33, v41, v40
	v_lshlrev_b64 v[34:35], 3, v[34:35]
	s_delay_alu instid0(VALU_DEP_4) | instskip(NEXT) | instid1(VALU_DEP_4)
	v_cvt_i32_f32_e32 v38, v4
	v_cvt_i32_f32_e32 v39, v5
	s_delay_alu instid0(VALU_DEP_4) | instskip(NEXT) | instid1(VALU_DEP_3)
	v_lshlrev_b64 v[32:33], 3, v[32:33]
	v_cvt_f64_i32_e32 v[4:5], v38
	s_delay_alu instid0(VALU_DEP_3)
	v_cvt_f64_i32_e32 v[6:7], v39
	v_add_nc_u32_e32 v43, 2, v38
	v_add_nc_u32_e32 v44, 1, v39
	v_add_nc_u32_e32 v41, -1, v38
	v_add_nc_u32_e32 v55, 2, v39
	v_add_f64 v[0:1], v[0:1], -v[4:5]
	v_add_f64 v[2:3], v[2:3], -v[6:7]
	s_delay_alu instid0(VALU_DEP_2) | instskip(NEXT) | instid1(VALU_DEP_2)
	v_add_f64 v[6:7], -v[0:1], 1.0
	v_add_f64 v[10:11], -v[2:3], 1.0
	v_add_f64 v[4:5], v[0:1], 1.0
	v_add_f64 v[8:9], v[2:3], 1.0
	v_fma_f64 v[16:17], v[0:1], s[34:35], 0xc0020000
	v_fma_f64 v[18:19], v[2:3], s[34:35], 0xc0020000
	v_add_f64 v[12:13], v[6:7], 1.0
	v_add_f64 v[14:15], v[10:11], 1.0
	v_fma_f64 v[20:21], v[4:5], s[2:3], 0x400e0000
	v_fma_f64 v[22:23], v[6:7], s[34:35], 0xc0020000
	;; [unrolled: 1-line block ×4, first 2 shown]
	v_mul_f64 v[16:17], v[0:1], v[16:17]
	v_mul_f64 v[18:19], v[2:3], v[18:19]
	v_fma_f64 v[28:29], v[12:13], s[2:3], 0x400e0000
	v_fma_f64 v[30:31], v[14:15], s[2:3], 0x400e0000
	;; [unrolled: 1-line block ×3, first 2 shown]
	v_mul_f64 v[22:23], v[6:7], v[22:23]
	v_fma_f64 v[24:25], v[8:9], v[24:25], 0xc0180000
	v_mul_f64 v[26:27], v[10:11], v[26:27]
	s_add_i32 s3, s10, -1
	s_add_i32 s2, s8, -1
	v_minmax_i32 v58, v43, s3, 0
	v_minmax_i32 v52, v38, s3, 0
	;; [unrolled: 1-line block ×5, first 2 shown]
	v_mad_u64_u32 v[46:47], null, s30, v58, 0
	v_add_nc_u32_e32 v42, 1, v38
	v_fma_f64 v[0:1], v[0:1], v[16:17], 1.0
	v_fma_f64 v[2:3], v[2:3], v[18:19], 1.0
	s_clause 0x1
	s_load_b64 s[8:9], s[0:1], 0x20
	s_load_b64 s[10:11], s[0:1], 0x68
	s_load_b32 s14, s[12:13], 0x8
	v_minmax_i32 v54, v42, s3, 0
	v_mad_u64_u32 v[42:43], null, s30, v53, 0
	s_sub_i32 s3, 0, s7
	s_delay_alu instid0(VALU_DEP_2) | instskip(SKIP_2) | instid1(VALU_DEP_2)
	v_mad_u64_u32 v[44:45], null, s30, v54, 0
	v_add_nc_u32_e32 v40, -1, v39
	v_mad_u64_u32 v[38:39], null, s30, v52, 0
	v_minmax_i32 v59, v40, s2, 0
	v_mad_u64_u32 v[40:41], null, s28, v57, 0
	s_delay_alu instid0(VALU_DEP_2) | instskip(SKIP_2) | instid1(VALU_DEP_4)
	v_mad_u64_u32 v[48:49], null, s28, v59, 0
	v_fma_f64 v[28:29], v[12:13], v[28:29], 0xc0180000
	v_fma_f64 v[30:31], v[14:15], v[30:31], 0xc0180000
	v_mad_u64_u32 v[50:51], null, s31, v52, v[39:40]
	v_mov_b32_e32 v39, v45
	v_mov_b32_e32 v45, v47
	v_mad_u64_u32 v[51:52], null, s31, v53, v[43:44]
	v_fma_f64 v[4:5], v[4:5], v[20:21], 0x40080000
	s_delay_alu instid0(VALU_DEP_4)
	v_mad_u64_u32 v[52:53], null, s31, v54, v[39:40]
	v_fma_f64 v[6:7], v[6:7], v[22:23], 1.0
	v_fma_f64 v[8:9], v[8:9], v[24:25], 0x40080000
	v_fma_f64 v[10:11], v[10:11], v[26:27], 1.0
	v_mad_u64_u32 v[53:54], null, s31, v58, v[45:46]
	v_minmax_i32 v58, v55, s2, 0
	v_mad_u64_u32 v[17:18], null, s29, v59, v[49:50]
	v_mad_u64_u32 v[54:55], null, s28, v60, 0
	v_dual_mov_b32 v16, v41 :: v_dual_mul_f32 v21, 0x4f7ffffe, v56
	v_mov_b32_e32 v39, v50
	v_mov_b32_e32 v43, v51
	;; [unrolled: 1-line block ×3, first 2 shown]
	s_delay_alu instid0(VALU_DEP_4) | instskip(SKIP_4) | instid1(VALU_DEP_4)
	v_mad_u64_u32 v[19:20], null, s29, v57, v[16:17]
	v_mov_b32_e32 v18, v55
	v_cvt_u32_f32_e32 v23, v21
	v_mov_b32_e32 v47, v53
	v_mov_b32_e32 v49, v17
	v_mad_u64_u32 v[20:21], null, s29, v60, v[18:19]
	s_delay_alu instid0(VALU_DEP_4)
	v_readfirstlane_b32 s2, v23
	v_mov_b32_e32 v41, v19
	v_fma_f64 v[12:13], v[12:13], v[28:29], 0x40080000
	v_fma_f64 v[14:15], v[14:15], v[30:31], 0x40080000
	v_mad_u64_u32 v[30:31], null, s28, v58, 0
	v_mov_b32_e32 v55, v20
	s_mul_i32 s3, s3, s2
	v_lshlrev_b64 v[18:19], 3, v[42:43]
	v_lshlrev_b64 v[24:25], 3, v[46:47]
	;; [unrolled: 1-line block ×4, first 2 shown]
	v_mov_b32_e32 v16, v31
	s_mul_hi_u32 s3, s2, s3
	s_delay_alu instid0(SALU_CYCLE_1) | instskip(NEXT) | instid1(VALU_DEP_1)
	s_add_i32 s21, s2, s3
	v_mad_u64_u32 v[21:22], null, s29, v58, v[16:17]
	v_lshlrev_b64 v[16:17], 3, v[48:49]
	v_lshlrev_b64 v[22:23], 3, v[44:45]
	s_delay_alu instid0(VALU_DEP_3) | instskip(SKIP_1) | instid1(VALU_DEP_2)
	v_mov_b32_e32 v31, v21
	v_lshlrev_b64 v[20:21], 3, v[38:39]
	v_lshlrev_b64 v[30:31], 3, v[30:31]
.LBB0_12:                               ; =>This Inner Loop Header: Depth=1
	s_abs_i32 s2, s23
	s_ashr_i32 s3, s23, 31
	s_mul_hi_u32 s4, s2, s21
	s_xor_b32 s3, s3, s20
	s_mul_i32 s28, s4, s7
	s_add_i32 s29, s4, 1
	s_sub_i32 s2, s2, s28
	s_delay_alu instid0(SALU_CYCLE_1)
	s_sub_i32 s28, s2, s7
	s_cmp_ge_u32 s2, s7
	s_cselect_b32 s4, s29, s4
	s_cselect_b32 s2, s28, s2
	s_add_i32 s28, s4, 1
	s_cmp_ge_u32 s2, s7
	s_cselect_b32 s2, s28, s4
	s_delay_alu instid0(SALU_CYCLE_1) | instskip(NEXT) | instid1(SALU_CYCLE_1)
	s_xor_b32 s2, s2, s3
	s_sub_i32 s30, s2, s3
	s_delay_alu instid0(SALU_CYCLE_1)
	s_ashr_i32 s31, s30, 31
	s_mul_i32 s3, s22, s30
	s_mul_hi_u32 s4, s24, s30
	s_mul_i32 s28, s24, s31
	s_mul_i32 s29, s25, s30
	s_add_i32 s33, s23, s3
	s_add_i32 s3, s4, s28
	s_mul_i32 s2, s24, s30
	s_add_i32 s3, s3, s29
	s_mul_hi_u32 s4, s26, s33
	s_lshl_b64 s[2:3], s[2:3], 3
	s_mul_i32 s34, s27, s33
	s_waitcnt lgkmcnt(0)
	s_add_u32 s35, s8, s2
	s_addc_u32 s36, s9, s3
	s_ashr_i32 s37, s33, 31
	s_mul_i32 s28, s26, s33
	s_mul_i32 s2, s26, s37
	s_delay_alu instid0(SALU_CYCLE_1) | instskip(NEXT) | instid1(SALU_CYCLE_1)
	s_add_i32 s2, s4, s2
	s_add_i32 s29, s2, s34
	s_delay_alu instid0(SALU_CYCLE_1)
	s_lshl_b64 s[2:3], s[28:29], 3
	s_mul_i32 s29, s16, s31
	s_add_u32 s4, s35, s2
	s_addc_u32 s28, s36, s3
	v_add_co_u32 v53, vcc_lo, s4, v16
	v_add_co_ci_u32_e32 v55, vcc_lo, s28, v17, vcc_lo
	s_mul_i32 s31, s19, s33
	s_delay_alu instid0(VALU_DEP_2) | instskip(SKIP_1) | instid1(VALU_DEP_3)
	v_add_co_u32 v40, s2, v53, v20
	v_add_co_u32 v38, vcc_lo, v53, v18
	v_add_co_ci_u32_e64 v41, s2, v55, v21, s2
	v_add_co_ci_u32_e32 v39, vcc_lo, v55, v19, vcc_lo
	s_clause 0x1
	global_load_b64 v[40:41], v[40:41], off
	global_load_b64 v[38:39], v[38:39], off
	v_add_co_u32 v60, vcc_lo, s4, v26
	v_add_co_ci_u32_e32 v61, vcc_lo, s28, v27, vcc_lo
	s_delay_alu instid0(VALU_DEP_2) | instskip(SKIP_1) | instid1(VALU_DEP_3)
	v_add_co_u32 v44, s2, v60, v20
	v_add_co_u32 v42, vcc_lo, v60, v18
	v_add_co_ci_u32_e64 v45, s2, v61, v21, s2
	v_add_co_ci_u32_e32 v43, vcc_lo, v61, v19, vcc_lo
	s_clause 0x1
	global_load_b64 v[44:45], v[44:45], off
	global_load_b64 v[42:43], v[42:43], off
	v_add_co_u32 v64, vcc_lo, s4, v28
	v_add_co_ci_u32_e32 v65, vcc_lo, s28, v29, vcc_lo
	v_add_co_u32 v46, vcc_lo, v53, v22
	s_delay_alu instid0(VALU_DEP_3) | instskip(SKIP_1) | instid1(VALU_DEP_4)
	v_add_co_u32 v50, s3, v64, v20
	v_add_co_u32 v48, s2, v64, v18
	v_add_co_ci_u32_e64 v51, s3, v65, v21, s3
	v_add_co_ci_u32_e32 v47, vcc_lo, v55, v23, vcc_lo
	v_add_co_ci_u32_e64 v49, vcc_lo, v65, v19, s2
	s_clause 0x2
	global_load_b64 v[50:51], v[50:51], off
	global_load_b64 v[46:47], v[46:47], off
	;; [unrolled: 1-line block ×3, first 2 shown]
	v_add_co_u32 v68, vcc_lo, s4, v30
	v_add_co_ci_u32_e32 v69, vcc_lo, s28, v31, vcc_lo
	v_add_co_u32 v52, vcc_lo, v60, v22
	s_delay_alu instid0(VALU_DEP_3) | instskip(SKIP_1) | instid1(VALU_DEP_4)
	v_add_co_u32 v56, s3, v68, v20
	v_add_co_u32 v58, s4, v53, v24
	v_add_co_ci_u32_e64 v57, s3, v69, v21, s3
	v_add_co_u32 v54, s2, v68, v18
	v_add_co_ci_u32_e32 v53, vcc_lo, v61, v23, vcc_lo
	v_add_co_ci_u32_e64 v59, s4, v55, v25, s4
	v_add_co_ci_u32_e64 v55, vcc_lo, v69, v19, s2
	s_clause 0x3
	global_load_b64 v[56:57], v[56:57], off
	global_load_b64 v[52:53], v[52:53], off
	;; [unrolled: 1-line block ×4, first 2 shown]
	v_add_co_u32 v62, s2, v64, v22
	v_add_co_u32 v60, vcc_lo, v60, v24
	v_add_co_ci_u32_e64 v63, s2, v65, v23, s2
	v_add_co_ci_u32_e32 v61, vcc_lo, v61, v25, vcc_lo
	s_clause 0x1
	global_load_b64 v[62:63], v[62:63], off
	global_load_b64 v[60:61], v[60:61], off
	v_add_co_u32 v66, s2, v68, v22
	v_add_co_u32 v64, vcc_lo, v64, v24
	v_add_co_ci_u32_e64 v67, s2, v69, v23, s2
	v_add_co_ci_u32_e32 v65, vcc_lo, v65, v25, vcc_lo
	s_clause 0x1
	global_load_b64 v[66:67], v[66:67], off
	global_load_b64 v[64:65], v[64:65], off
	v_add_co_u32 v68, vcc_lo, v68, v24
	v_add_co_ci_u32_e32 v69, vcc_lo, v69, v25, vcc_lo
	s_mul_hi_u32 s3, s16, s30
	s_mul_i32 s4, s17, s30
	s_add_i32 s3, s3, s29
	global_load_b64 v[68:69], v[68:69], off
	s_mul_i32 s2, s16, s30
	s_add_i32 s3, s3, s4
	s_mul_hi_u32 s30, s18, s33
	s_lshl_b64 s[2:3], s[2:3], 3
	s_mul_i32 s28, s18, s33
	s_mul_i32 s33, s18, s37
	s_add_u32 s4, s10, s2
	s_addc_u32 s34, s11, s3
	s_add_i32 s2, s30, s33
	s_delay_alu instid0(SALU_CYCLE_1) | instskip(NEXT) | instid1(SALU_CYCLE_1)
	s_add_i32 s29, s2, s31
	s_lshl_b64 s[2:3], s[28:29], 3
	s_delay_alu instid0(SALU_CYCLE_1) | instskip(SKIP_2) | instid1(SALU_CYCLE_1)
	s_add_u32 s2, s4, s2
	s_addc_u32 s3, s34, s3
	s_add_i32 s23, s23, s14
	s_cmp_lt_i32 s23, s5
	s_waitcnt vmcnt(15)
	v_mul_f64 v[40:41], v[0:1], v[40:41]
	s_waitcnt vmcnt(13)
	v_mul_f64 v[44:45], v[0:1], v[44:45]
	s_delay_alu instid0(VALU_DEP_2) | instskip(SKIP_2) | instid1(VALU_DEP_3)
	v_fma_f64 v[38:39], v[4:5], v[38:39], v[40:41]
	s_waitcnt vmcnt(11)
	v_mul_f64 v[40:41], v[0:1], v[50:51]
	v_fma_f64 v[42:43], v[4:5], v[42:43], v[44:45]
	s_waitcnt vmcnt(8)
	v_mul_f64 v[44:45], v[0:1], v[56:57]
	s_delay_alu instid0(VALU_DEP_4) | instskip(NEXT) | instid1(VALU_DEP_4)
	v_fma_f64 v[38:39], v[6:7], v[46:47], v[38:39]
	v_fma_f64 v[40:41], v[4:5], v[48:49], v[40:41]
	s_waitcnt vmcnt(7)
	s_delay_alu instid0(VALU_DEP_4) | instskip(SKIP_1) | instid1(VALU_DEP_4)
	v_fma_f64 v[42:43], v[6:7], v[52:53], v[42:43]
	s_waitcnt vmcnt(5)
	v_fma_f64 v[44:45], v[4:5], v[54:55], v[44:45]
	s_delay_alu instid0(VALU_DEP_4) | instskip(SKIP_1) | instid1(VALU_DEP_4)
	v_fma_f64 v[38:39], v[12:13], v[58:59], v[38:39]
	s_waitcnt vmcnt(4)
	v_fma_f64 v[40:41], v[6:7], v[62:63], v[40:41]
	s_waitcnt vmcnt(3)
	s_delay_alu instid0(VALU_DEP_4) | instskip(SKIP_1) | instid1(VALU_DEP_4)
	v_fma_f64 v[42:43], v[12:13], v[60:61], v[42:43]
	s_waitcnt vmcnt(2)
	v_fma_f64 v[44:45], v[6:7], v[66:67], v[44:45]
	s_delay_alu instid0(VALU_DEP_4) | instskip(SKIP_1) | instid1(VALU_DEP_4)
	v_mul_f64 v[38:39], v[8:9], v[38:39]
	s_waitcnt vmcnt(1)
	v_fma_f64 v[40:41], v[12:13], v[64:65], v[40:41]
	s_delay_alu instid0(VALU_DEP_2) | instskip(SKIP_1) | instid1(VALU_DEP_4)
	v_fma_f64 v[38:39], v[2:3], v[42:43], v[38:39]
	s_waitcnt vmcnt(0)
	v_fma_f64 v[42:43], v[12:13], v[68:69], v[44:45]
	s_delay_alu instid0(VALU_DEP_2) | instskip(SKIP_2) | instid1(VALU_DEP_2)
	v_fma_f64 v[38:39], v[10:11], v[40:41], v[38:39]
	v_add_co_u32 v40, vcc_lo, s2, v32
	v_add_co_ci_u32_e32 v41, vcc_lo, s3, v33, vcc_lo
	v_add_co_u32 v40, vcc_lo, v40, v34
	s_delay_alu instid0(VALU_DEP_2)
	v_add_co_ci_u32_e32 v41, vcc_lo, v41, v35, vcc_lo
	v_fma_f64 v[38:39], v[14:15], v[42:43], v[38:39]
	global_store_b64 v[40:41], v[38:39], off
	s_cbranch_scc1 .LBB0_12
.LBB0_13:
	s_mov_b32 s2, 0
.LBB0_14:
	s_delay_alu instid0(SALU_CYCLE_1)
	s_and_b32 vcc_lo, exec_lo, s2
	s_cbranch_vccz .LBB0_18
; %bb.15:
	s_cmp_ge_i32 s15, s5
	s_cbranch_scc1 .LBB0_18
; %bb.16:
	s_abs_i32 s4, s6
	s_load_b256 s[16:23], s[0:1], 0x48
	v_cvt_f32_u32_e32 v0, s4
	s_load_b256 s[24:31], s[0:1], 0x90
	v_ashrrev_i32_e32 v4, 31, v36
	v_ashrrev_i32_e32 v6, 31, v37
	s_load_b64 s[2:3], s[0:1], 0x20
	v_rcp_iflag_f32_e32 v0, v0
	s_load_b64 s[0:1], s[0:1], 0x68
	s_load_b32 s7, s[12:13], 0x8
	s_sub_i32 s8, 0, s4
	s_waitcnt_depctr 0xfff
	v_mul_f32_e32 v7, 0x4f7ffffe, v0
	s_waitcnt lgkmcnt(0)
	v_mul_lo_u32 v8, s21, v36
	v_mul_lo_u32 v9, s20, v4
	v_mad_u64_u32 v[0:1], null, s20, v36, 0
	v_mul_lo_u32 v10, s23, v37
	v_mul_lo_u32 v11, s22, v6
	v_mad_u64_u32 v[2:3], null, s22, v37, 0
	;; [unrolled: 3-line block ×3, first 2 shown]
	v_mul_lo_u32 v14, s31, v37
	v_mul_lo_u32 v15, s30, v6
	v_cvt_u32_f32_e32 v16, v7
	v_mad_u64_u32 v[6:7], null, s30, v37, 0
	v_add3_u32 v1, v1, v9, v8
	v_add3_u32 v3, v3, v11, v10
	s_delay_alu instid0(VALU_DEP_4) | instskip(SKIP_1) | instid1(VALU_DEP_4)
	v_readfirstlane_b32 s9, v16
	v_add3_u32 v5, v5, v13, v12
	v_lshlrev_b64 v[0:1], 3, v[0:1]
	v_add3_u32 v7, v7, v15, v14
	s_delay_alu instid0(VALU_DEP_4)
	s_mul_i32 s8, s8, s9
	v_lshlrev_b64 v[2:3], 3, v[2:3]
	v_lshlrev_b64 v[4:5], 3, v[4:5]
	s_mul_hi_u32 s10, s9, s8
	v_lshlrev_b64 v[6:7], 3, v[6:7]
	s_ashr_i32 s8, s6, 31
	s_add_i32 s9, s9, s10
	s_sub_i32 s6, 0, s6
.LBB0_17:                               ; =>This Inner Loop Header: Depth=1
	s_abs_i32 s10, s15
	s_ashr_i32 s11, s15, 31
	s_mul_hi_u32 s12, s10, s9
	s_xor_b32 s11, s11, s8
	s_mul_i32 s13, s12, s4
	s_add_i32 s14, s12, 1
	s_sub_i32 s10, s10, s13
	s_delay_alu instid0(SALU_CYCLE_1)
	s_sub_i32 s13, s10, s4
	s_cmp_ge_u32 s10, s4
	s_cselect_b32 s12, s14, s12
	s_cselect_b32 s10, s13, s10
	s_add_i32 s13, s12, 1
	s_cmp_ge_u32 s10, s4
	s_cselect_b32 s10, s13, s12
	s_delay_alu instid0(SALU_CYCLE_1) | instskip(NEXT) | instid1(SALU_CYCLE_1)
	s_xor_b32 s10, s10, s11
	s_sub_i32 s14, s10, s11
	s_delay_alu instid0(SALU_CYCLE_1)
	s_ashr_i32 s20, s14, 31
	s_mul_i32 s11, s6, s14
	s_mul_hi_u32 s12, s16, s14
	s_mul_i32 s21, s16, s20
	s_mul_i32 s13, s17, s14
	s_add_i32 s22, s15, s11
	s_add_i32 s11, s12, s21
	s_mul_i32 s10, s16, s14
	s_add_i32 s11, s11, s13
	s_mul_hi_u32 s21, s18, s22
	s_lshl_b64 s[10:11], s[10:11], 3
	s_mul_i32 s23, s19, s22
	s_add_u32 s28, s2, s10
	s_addc_u32 s29, s3, s11
	s_ashr_i32 s30, s22, 31
	s_mul_i32 s12, s18, s22
	s_mul_i32 s10, s18, s30
	s_delay_alu instid0(SALU_CYCLE_1) | instskip(SKIP_2) | instid1(SALU_CYCLE_1)
	s_add_i32 s10, s21, s10
	s_mul_i32 s21, s27, s22
	s_add_i32 s13, s10, s23
	s_lshl_b64 s[10:11], s[12:13], 3
	s_mul_i32 s13, s25, s14
	s_add_u32 s10, s28, s10
	s_addc_u32 s11, s29, s11
	v_add_co_u32 v8, vcc_lo, s10, v0
	v_add_co_ci_u32_e32 v9, vcc_lo, s11, v1, vcc_lo
	s_mul_hi_u32 s11, s24, s14
	s_delay_alu instid0(VALU_DEP_2) | instskip(NEXT) | instid1(VALU_DEP_2)
	v_add_co_u32 v8, vcc_lo, v8, v2
	v_add_co_ci_u32_e32 v9, vcc_lo, v9, v3, vcc_lo
	s_mul_i32 s10, s24, s14
	s_mul_i32 s14, s24, s20
	s_mul_hi_u32 s20, s26, s22
	global_load_b64 v[8:9], v[8:9], off
	s_add_i32 s11, s11, s14
	s_mul_i32 s12, s26, s22
	s_add_i32 s11, s11, s13
	s_mul_i32 s22, s26, s30
	s_lshl_b64 s[10:11], s[10:11], 3
	s_delay_alu instid0(SALU_CYCLE_1) | instskip(SKIP_2) | instid1(SALU_CYCLE_1)
	s_add_u32 s14, s0, s10
	s_addc_u32 s23, s1, s11
	s_add_i32 s10, s20, s22
	s_add_i32 s13, s10, s21
	s_delay_alu instid0(SALU_CYCLE_1) | instskip(NEXT) | instid1(SALU_CYCLE_1)
	s_lshl_b64 s[10:11], s[12:13], 3
	s_add_u32 s10, s14, s10
	s_addc_u32 s11, s23, s11
	v_add_co_u32 v10, vcc_lo, s10, v4
	v_add_co_ci_u32_e32 v11, vcc_lo, s11, v5, vcc_lo
	s_add_i32 s15, s15, s7
	s_delay_alu instid0(VALU_DEP_2) | instskip(NEXT) | instid1(VALU_DEP_2)
	v_add_co_u32 v10, vcc_lo, v10, v6
	v_add_co_ci_u32_e32 v11, vcc_lo, v11, v7, vcc_lo
	s_cmp_ge_i32 s15, s5
	s_waitcnt vmcnt(0)
	global_store_b64 v[10:11], v[8:9], off
	s_cbranch_scc0 .LBB0_17
.LBB0_18:
	s_nop 0
	s_sendmsg sendmsg(MSG_DEALLOC_VGPRS)
	s_endpgm
	.section	.rodata,"a",@progbits
	.p2align	6, 0x0
	.amdhsa_kernel _ZN2at6native12_GLOBAL__N_137upsample_bicubic2d_out_frame_parallelIddEEviT0_S3_bN5torch10headeronly6detail27GenericPackedTensorAccessorINS6_14TensorAccessorIN3c108ArrayRefIlEEKT_Lm3ENS5_16DefaultPtrTraitsElEENS_6detail16IndexBoundsCheckILm4ElEESD_Lm4ESE_lEENS7_INS8_ISB_SC_Lm3ESE_lEESI_SC_Lm4ESE_lEE
		.amdhsa_group_segment_fixed_size 0
		.amdhsa_private_segment_fixed_size 0
		.amdhsa_kernarg_size 432
		.amdhsa_user_sgpr_count 14
		.amdhsa_user_sgpr_dispatch_ptr 0
		.amdhsa_user_sgpr_queue_ptr 0
		.amdhsa_user_sgpr_kernarg_segment_ptr 1
		.amdhsa_user_sgpr_dispatch_id 0
		.amdhsa_user_sgpr_private_segment_size 0
		.amdhsa_wavefront_size32 1
		.amdhsa_uses_dynamic_stack 0
		.amdhsa_enable_private_segment 0
		.amdhsa_system_sgpr_workgroup_id_x 1
		.amdhsa_system_sgpr_workgroup_id_y 0
		.amdhsa_system_sgpr_workgroup_id_z 1
		.amdhsa_system_sgpr_workgroup_info 0
		.amdhsa_system_vgpr_workitem_id 0
		.amdhsa_next_free_vgpr 70
		.amdhsa_next_free_sgpr 38
		.amdhsa_reserve_vcc 1
		.amdhsa_float_round_mode_32 0
		.amdhsa_float_round_mode_16_64 0
		.amdhsa_float_denorm_mode_32 3
		.amdhsa_float_denorm_mode_16_64 3
		.amdhsa_dx10_clamp 1
		.amdhsa_ieee_mode 1
		.amdhsa_fp16_overflow 0
		.amdhsa_workgroup_processor_mode 1
		.amdhsa_memory_ordered 1
		.amdhsa_forward_progress 0
		.amdhsa_shared_vgpr_count 0
		.amdhsa_exception_fp_ieee_invalid_op 0
		.amdhsa_exception_fp_denorm_src 0
		.amdhsa_exception_fp_ieee_div_zero 0
		.amdhsa_exception_fp_ieee_overflow 0
		.amdhsa_exception_fp_ieee_underflow 0
		.amdhsa_exception_fp_ieee_inexact 0
		.amdhsa_exception_int_div_zero 0
	.end_amdhsa_kernel
	.section	.text._ZN2at6native12_GLOBAL__N_137upsample_bicubic2d_out_frame_parallelIddEEviT0_S3_bN5torch10headeronly6detail27GenericPackedTensorAccessorINS6_14TensorAccessorIN3c108ArrayRefIlEEKT_Lm3ENS5_16DefaultPtrTraitsElEENS_6detail16IndexBoundsCheckILm4ElEESD_Lm4ESE_lEENS7_INS8_ISB_SC_Lm3ESE_lEESI_SC_Lm4ESE_lEE,"axG",@progbits,_ZN2at6native12_GLOBAL__N_137upsample_bicubic2d_out_frame_parallelIddEEviT0_S3_bN5torch10headeronly6detail27GenericPackedTensorAccessorINS6_14TensorAccessorIN3c108ArrayRefIlEEKT_Lm3ENS5_16DefaultPtrTraitsElEENS_6detail16IndexBoundsCheckILm4ElEESD_Lm4ESE_lEENS7_INS8_ISB_SC_Lm3ESE_lEESI_SC_Lm4ESE_lEE,comdat
.Lfunc_end0:
	.size	_ZN2at6native12_GLOBAL__N_137upsample_bicubic2d_out_frame_parallelIddEEviT0_S3_bN5torch10headeronly6detail27GenericPackedTensorAccessorINS6_14TensorAccessorIN3c108ArrayRefIlEEKT_Lm3ENS5_16DefaultPtrTraitsElEENS_6detail16IndexBoundsCheckILm4ElEESD_Lm4ESE_lEENS7_INS8_ISB_SC_Lm3ESE_lEESI_SC_Lm4ESE_lEE, .Lfunc_end0-_ZN2at6native12_GLOBAL__N_137upsample_bicubic2d_out_frame_parallelIddEEviT0_S3_bN5torch10headeronly6detail27GenericPackedTensorAccessorINS6_14TensorAccessorIN3c108ArrayRefIlEEKT_Lm3ENS5_16DefaultPtrTraitsElEENS_6detail16IndexBoundsCheckILm4ElEESD_Lm4ESE_lEENS7_INS8_ISB_SC_Lm3ESE_lEESI_SC_Lm4ESE_lEE
                                        ; -- End function
	.section	.AMDGPU.csdata,"",@progbits
; Kernel info:
; codeLenInByte = 3080
; NumSgprs: 40
; NumVgprs: 70
; ScratchSize: 0
; MemoryBound: 0
; FloatMode: 240
; IeeeMode: 1
; LDSByteSize: 0 bytes/workgroup (compile time only)
; SGPRBlocks: 4
; VGPRBlocks: 8
; NumSGPRsForWavesPerEU: 40
; NumVGPRsForWavesPerEU: 70
; Occupancy: 16
; WaveLimiterHint : 1
; COMPUTE_PGM_RSRC2:SCRATCH_EN: 0
; COMPUTE_PGM_RSRC2:USER_SGPR: 14
; COMPUTE_PGM_RSRC2:TRAP_HANDLER: 0
; COMPUTE_PGM_RSRC2:TGID_X_EN: 1
; COMPUTE_PGM_RSRC2:TGID_Y_EN: 0
; COMPUTE_PGM_RSRC2:TGID_Z_EN: 1
; COMPUTE_PGM_RSRC2:TIDIG_COMP_CNT: 0
	.section	.text._ZN2at6native12_GLOBAL__N_128upsample_bicubic2d_out_frameIddEEviT0_S3_bN5torch10headeronly6detail27GenericPackedTensorAccessorINS6_14TensorAccessorIN3c108ArrayRefIlEEKT_Lm3ENS5_16DefaultPtrTraitsElEENS_6detail16IndexBoundsCheckILm4ElEESD_Lm4ESE_lEENS7_INS8_ISB_SC_Lm3ESE_lEESI_SC_Lm4ESE_lEE,"axG",@progbits,_ZN2at6native12_GLOBAL__N_128upsample_bicubic2d_out_frameIddEEviT0_S3_bN5torch10headeronly6detail27GenericPackedTensorAccessorINS6_14TensorAccessorIN3c108ArrayRefIlEEKT_Lm3ENS5_16DefaultPtrTraitsElEENS_6detail16IndexBoundsCheckILm4ElEESD_Lm4ESE_lEENS7_INS8_ISB_SC_Lm3ESE_lEESI_SC_Lm4ESE_lEE,comdat
	.globl	_ZN2at6native12_GLOBAL__N_128upsample_bicubic2d_out_frameIddEEviT0_S3_bN5torch10headeronly6detail27GenericPackedTensorAccessorINS6_14TensorAccessorIN3c108ArrayRefIlEEKT_Lm3ENS5_16DefaultPtrTraitsElEENS_6detail16IndexBoundsCheckILm4ElEESD_Lm4ESE_lEENS7_INS8_ISB_SC_Lm3ESE_lEESI_SC_Lm4ESE_lEE ; -- Begin function _ZN2at6native12_GLOBAL__N_128upsample_bicubic2d_out_frameIddEEviT0_S3_bN5torch10headeronly6detail27GenericPackedTensorAccessorINS6_14TensorAccessorIN3c108ArrayRefIlEEKT_Lm3ENS5_16DefaultPtrTraitsElEENS_6detail16IndexBoundsCheckILm4ElEESD_Lm4ESE_lEENS7_INS8_ISB_SC_Lm3ESE_lEESI_SC_Lm4ESE_lEE
	.p2align	8
	.type	_ZN2at6native12_GLOBAL__N_128upsample_bicubic2d_out_frameIddEEviT0_S3_bN5torch10headeronly6detail27GenericPackedTensorAccessorINS6_14TensorAccessorIN3c108ArrayRefIlEEKT_Lm3ENS5_16DefaultPtrTraitsElEENS_6detail16IndexBoundsCheckILm4ElEESD_Lm4ESE_lEENS7_INS8_ISB_SC_Lm3ESE_lEESI_SC_Lm4ESE_lEE,@function
_ZN2at6native12_GLOBAL__N_128upsample_bicubic2d_out_frameIddEEviT0_S3_bN5torch10headeronly6detail27GenericPackedTensorAccessorINS6_14TensorAccessorIN3c108ArrayRefIlEEKT_Lm3ENS5_16DefaultPtrTraitsElEENS_6detail16IndexBoundsCheckILm4ElEESD_Lm4ESE_lEENS7_INS8_ISB_SC_Lm3ESE_lEESI_SC_Lm4ESE_lEE: ; @_ZN2at6native12_GLOBAL__N_128upsample_bicubic2d_out_frameIddEEviT0_S3_bN5torch10headeronly6detail27GenericPackedTensorAccessorINS6_14TensorAccessorIN3c108ArrayRefIlEEKT_Lm3ENS5_16DefaultPtrTraitsElEENS_6detail16IndexBoundsCheckILm4ElEESD_Lm4ESE_lEENS7_INS8_ISB_SC_Lm3ESE_lEESI_SC_Lm4ESE_lEE
; %bb.0:
	s_clause 0x1
	s_load_b32 s2, s[0:1], 0xbc
	s_load_b32 s3, s[0:1], 0x0
	s_waitcnt lgkmcnt(0)
	s_and_b32 s2, s2, 0xffff
	s_delay_alu instid0(SALU_CYCLE_1) | instskip(SKIP_1) | instid1(VALU_DEP_1)
	v_mad_u64_u32 v[1:2], null, s15, s2, v[0:1]
	s_mov_b32 s2, exec_lo
	v_cmpx_gt_i32_e64 s3, v1
	s_cbranch_execz .LBB1_22
; %bb.1:
	s_load_b128 s[12:15], s[0:1], 0x80
	v_sub_nc_u32_e32 v3, 0, v1
	s_load_b256 s[4:11], s[0:1], 0x28
	s_delay_alu instid0(VALU_DEP_1) | instskip(SKIP_2) | instid1(SALU_CYCLE_1)
	v_max_i32_e32 v3, v1, v3
	s_waitcnt lgkmcnt(0)
	s_abs_i32 s2, s14
	v_cvt_f32_u32_e32 v0, s2
	s_sub_i32 s3, 0, s2
	s_cmp_lg_u32 s8, s12
	s_delay_alu instid0(VALU_DEP_1) | instskip(SKIP_2) | instid1(VALU_DEP_1)
	v_rcp_iflag_f32_e32 v0, v0
	s_waitcnt_depctr 0xfff
	v_mul_f32_e32 v0, 0x4f7ffffe, v0
	v_cvt_u32_f32_e32 v0, v0
	s_delay_alu instid0(VALU_DEP_1) | instskip(NEXT) | instid1(VALU_DEP_1)
	v_mul_lo_u32 v2, s3, v0
	v_mul_hi_u32 v2, v0, v2
	s_delay_alu instid0(VALU_DEP_1) | instskip(NEXT) | instid1(VALU_DEP_1)
	v_add_nc_u32_e32 v0, v0, v2
	v_mul_hi_u32 v0, v3, v0
	s_delay_alu instid0(VALU_DEP_1) | instskip(NEXT) | instid1(VALU_DEP_1)
	v_mul_lo_u32 v2, v0, s2
	v_sub_nc_u32_e32 v2, v3, v2
	v_add_nc_u32_e32 v3, 1, v0
	s_delay_alu instid0(VALU_DEP_2) | instskip(SKIP_1) | instid1(VALU_DEP_3)
	v_subrev_nc_u32_e32 v4, s2, v2
	v_cmp_le_u32_e32 vcc_lo, s2, v2
	v_cndmask_b32_e32 v0, v0, v3, vcc_lo
	s_delay_alu instid0(VALU_DEP_3) | instskip(SKIP_1) | instid1(VALU_DEP_3)
	v_cndmask_b32_e32 v2, v2, v4, vcc_lo
	v_xor_b32_e32 v3, s14, v1
	v_add_nc_u32_e32 v4, 1, v0
	s_delay_alu instid0(VALU_DEP_3) | instskip(NEXT) | instid1(VALU_DEP_3)
	v_cmp_le_u32_e32 vcc_lo, s2, v2
	v_ashrrev_i32_e32 v3, 31, v3
	s_cselect_b32 s2, -1, 0
	s_cmp_lg_u32 s10, s14
	v_cndmask_b32_e32 v0, v0, v4, vcc_lo
	s_cselect_b32 s3, -1, 0
	s_delay_alu instid0(SALU_CYCLE_1) | instskip(NEXT) | instid1(VALU_DEP_1)
	s_or_b32 s2, s3, s2
	v_xor_b32_e32 v0, v0, v3
	s_and_b32 vcc_lo, exec_lo, s2
	s_mov_b32 s2, -1
	s_delay_alu instid0(VALU_DEP_1) | instskip(NEXT) | instid1(VALU_DEP_1)
	v_sub_nc_u32_e32 v20, v0, v3
	v_mul_lo_u32 v0, v20, s14
	s_delay_alu instid0(VALU_DEP_1)
	v_sub_nc_u32_e32 v21, v1, v0
	s_cbranch_vccz .LBB1_16
; %bb.2:
	s_delay_alu instid0(VALU_DEP_1)
	v_cvt_f64_i32_e32 v[2:3], v21
	s_clause 0x1
	s_load_b32 s2, s[0:1], 0x18
	s_load_b128 s[12:15], s[0:1], 0x8
	s_mov_b32 s3, -1
	s_waitcnt lgkmcnt(0)
	s_bitcmp1_b32 s2, 0
	s_cselect_b32 s2, -1, 0
	s_delay_alu instid0(SALU_CYCLE_1) | instskip(NEXT) | instid1(SALU_CYCLE_1)
	s_xor_b32 s2, s2, -1
	s_and_b32 vcc_lo, exec_lo, s2
	s_cbranch_vccz .LBB1_4
; %bb.3:
	s_delay_alu instid0(VALU_DEP_1) | instskip(NEXT) | instid1(VALU_DEP_1)
	v_add_f64 v[0:1], v[2:3], 0.5
	v_fma_f64 v[0:1], v[0:1], s[14:15], -0.5
	s_cbranch_execz .LBB1_5
	s_branch .LBB1_6
.LBB1_4:
                                        ; implicit-def: $vgpr0_vgpr1
	s_and_not1_b32 vcc_lo, exec_lo, s3
	s_cbranch_vccnz .LBB1_6
.LBB1_5:
	s_delay_alu instid0(VALU_DEP_1)
	v_mul_f64 v[0:1], v[2:3], s[14:15]
.LBB1_6:
	v_cvt_f64_i32_e32 v[4:5], v20
	s_and_b32 vcc_lo, exec_lo, s2
	s_cbranch_vccz .LBB1_8
; %bb.7:
	s_delay_alu instid0(VALU_DEP_1) | instskip(NEXT) | instid1(VALU_DEP_1)
	v_add_f64 v[2:3], v[4:5], 0.5
	v_fma_f64 v[2:3], v[2:3], s[12:13], -0.5
	s_cbranch_execz .LBB1_9
	s_branch .LBB1_10
.LBB1_8:
                                        ; implicit-def: $vgpr2_vgpr3
.LBB1_9:
	s_delay_alu instid0(VALU_DEP_1)
	v_mul_f64 v[2:3], v[4:5], s[12:13]
.LBB1_10:
	s_cmp_lt_i32 s4, 1
	s_cbranch_scc1 .LBB1_15
; %bb.11:
	s_delay_alu instid0(VALU_DEP_3) | instskip(NEXT) | instid1(VALU_DEP_2)
	v_cvt_f32_f64_e32 v4, v[0:1]
	v_cvt_f32_f64_e32 v5, v[2:3]
	s_clause 0x1
	s_load_b256 s[12:19], s[0:1], 0x90
	s_load_b64 s[28:29], s[0:1], 0x68
	s_cmp_gt_i32 s6, 0
	s_mov_b32 s24, 0
	s_cselect_b32 s7, -1, 0
	s_add_i32 s10, s10, -1
	s_add_i32 s11, s8, -1
	s_mov_b32 s26, 0
	s_mov_b32 s25, 0xbfe80000
	;; [unrolled: 1-line block ×4, first 2 shown]
	s_waitcnt lgkmcnt(0)
	v_mul_lo_u32 v11, s17, v20
	v_mul_lo_u32 v15, s19, v21
	s_lshl_b64 s[8:9], s[12:13], 3
	s_delay_alu instid0(VALU_DEP_4) | instskip(NEXT) | instid1(VALU_DEP_4)
	v_floor_f32_e32 v4, v4
	v_floor_f32_e32 v5, v5
	s_delay_alu instid0(VALU_DEP_2) | instskip(NEXT) | instid1(VALU_DEP_2)
	v_cvt_i32_f32_e32 v10, v4
	v_cvt_i32_f32_e32 v16, v5
	s_delay_alu instid0(VALU_DEP_2) | instskip(NEXT) | instid1(VALU_DEP_2)
	v_cvt_f64_i32_e32 v[4:5], v10
	v_cvt_f64_i32_e32 v[6:7], v16
	v_add_nc_u32_e32 v23, 2, v10
	v_minmax_i32 v36, v10, s10, 0
	v_minmax_i32 v43, v16, s11, 0
	v_add_nc_u32_e32 v24, 1, v16
	v_add_nc_u32_e32 v25, 2, v16
	v_minmax_i32 v60, v23, s10, 0
	s_delay_alu instid0(VALU_DEP_3) | instskip(NEXT) | instid1(VALU_DEP_3)
	v_minmax_i32 v61, v24, s11, 0
	v_minmax_i32 v62, v25, s11, 0
	v_add_f64 v[4:5], v[0:1], -v[4:5]
	v_add_f64 v[6:7], v[2:3], -v[6:7]
	v_ashrrev_i32_e32 v0, 31, v20
	v_ashrrev_i32_e32 v2, 31, v21
	s_delay_alu instid0(VALU_DEP_2) | instskip(SKIP_1) | instid1(VALU_DEP_3)
	v_mul_lo_u32 v14, s16, v0
	v_mad_u64_u32 v[0:1], null, s16, v20, 0
	v_mul_lo_u32 v17, s18, v2
	v_mad_u64_u32 v[2:3], null, s18, v21, 0
	s_clause 0x1
	s_load_b64 s[2:3], s[0:1], 0x20
	s_load_b256 s[16:23], s[0:1], 0x48
	s_delay_alu instid0(VALU_DEP_3) | instskip(NEXT) | instid1(VALU_DEP_2)
	v_add3_u32 v1, v1, v14, v11
	v_add3_u32 v3, v3, v17, v15
	s_delay_alu instid0(VALU_DEP_2) | instskip(NEXT) | instid1(VALU_DEP_2)
	v_lshlrev_b64 v[0:1], 3, v[0:1]
	v_lshlrev_b64 v[2:3], 3, v[2:3]
	s_delay_alu instid0(VALU_DEP_2) | instskip(NEXT) | instid1(VALU_DEP_3)
	v_add_co_u32 v0, vcc_lo, s28, v0
	v_add_co_ci_u32_e32 v1, vcc_lo, s29, v1, vcc_lo
	s_delay_alu instid0(VALU_DEP_2)
	v_add_co_u32 v0, vcc_lo, v0, v2
	s_waitcnt lgkmcnt(0)
	v_mad_u64_u32 v[30:31], null, s22, v60, 0
	v_add_nc_u32_e32 v22, 1, v10
	v_add_co_ci_u32_e32 v1, vcc_lo, v1, v3, vcc_lo
	v_add_f64 v[8:9], -v[4:5], 1.0
	v_add_f64 v[12:13], -v[6:7], 1.0
	s_delay_alu instid0(VALU_DEP_4)
	v_minmax_i32 v59, v22, s10, 0
	v_add_nc_u32_e32 v3, -1, v10
	v_add_f64 v[10:11], v[4:5], 1.0
	v_add_f64 v[14:15], v[6:7], 1.0
	v_fma_f64 v[37:38], v[6:7], s[26:27], 0xc0020000
	v_mad_u64_u32 v[28:29], null, s22, v59, 0
	v_add_nc_u32_e32 v2, -1, v16
	v_minmax_i32 v58, v3, s10, 0
	v_mad_u64_u32 v[22:23], null, s20, v43, 0
	v_mad_u64_u32 v[32:33], null, s20, v61, 0
	s_delay_alu instid0(VALU_DEP_4) | instskip(SKIP_2) | instid1(VALU_DEP_3)
	v_minmax_i32 v57, v2, s11, 0
	v_mad_u64_u32 v[2:3], null, s22, v36, 0
	v_mad_u64_u32 v[26:27], null, s22, v58, 0
	;; [unrolled: 1-line block ×4, first 2 shown]
	s_delay_alu instid0(VALU_DEP_4)
	v_mad_u64_u32 v[34:35], null, s23, v36, v[3:4]
	v_mov_b32_e32 v3, v29
	v_fma_f64 v[35:36], v[4:5], s[26:27], 0xc0020000
	v_mad_u64_u32 v[54:55], null, s21, v43, v[23:24]
	v_mov_b32_e32 v29, v31
	v_mad_u64_u32 v[55:56], null, s21, v57, v[25:26]
	v_mov_b32_e32 v23, v33
	;; [unrolled: 2-line block ×3, first 2 shown]
	v_mad_u64_u32 v[57:58], null, s23, v59, v[3:4]
	v_add_f64 v[16:17], v[8:9], 1.0
	v_add_f64 v[18:19], v[12:13], 1.0
	v_fma_f64 v[41:42], v[8:9], s[26:27], 0xc0020000
	v_fma_f64 v[39:40], v[10:11], s[24:25], 0x400e0000
	;; [unrolled: 1-line block ×4, first 2 shown]
	v_mul_f64 v[69:70], v[6:7], v[37:38]
	v_mad_u64_u32 v[58:59], null, s23, v60, v[29:30]
	v_mad_u64_u32 v[59:60], null, s21, v61, v[23:24]
	v_mov_b32_e32 v3, v34
	v_mov_b32_e32 v23, v54
	;; [unrolled: 1-line block ×4, first 2 shown]
	v_mad_u64_u32 v[60:61], null, s21, v62, v[31:32]
	v_lshlrev_b64 v[54:55], 3, v[2:3]
	v_lshlrev_b64 v[2:3], 3, v[22:23]
	v_mov_b32_e32 v29, v57
	v_mov_b32_e32 v31, v58
	;; [unrolled: 1-line block ×3, first 2 shown]
	v_lshlrev_b64 v[56:57], 3, v[24:25]
	v_lshlrev_b64 v[58:59], 3, v[26:27]
	v_add_co_u32 v22, vcc_lo, v2, v54
	v_mul_f64 v[67:68], v[4:5], v[35:36]
	v_add_co_ci_u32_e32 v23, vcc_lo, v3, v55, vcc_lo
	v_lshlrev_b64 v[61:62], 3, v[28:29]
	v_add_co_u32 v24, vcc_lo, v56, v58
	v_add_co_ci_u32_e32 v25, vcc_lo, v57, v59, vcc_lo
	v_lshlrev_b64 v[63:64], 3, v[30:31]
	v_add_co_u32 v26, vcc_lo, v54, v56
	v_add_co_ci_u32_e32 v27, vcc_lo, v55, v57, vcc_lo
	v_fma_f64 v[50:51], v[16:17], s[24:25], 0x400e0000
	v_fma_f64 v[52:53], v[18:19], s[24:25], 0x400e0000
	;; [unrolled: 1-line block ×3, first 2 shown]
	v_mul_f64 v[40:41], v[8:9], v[41:42]
	v_fma_f64 v[42:43], v[14:15], v[46:47], 0xc0180000
	v_mul_f64 v[45:46], v[12:13], v[48:49]
	v_add_co_u32 v28, vcc_lo, v56, v61
	v_add_co_ci_u32_e32 v29, vcc_lo, v57, v62, vcc_lo
	v_add_co_u32 v30, vcc_lo, v56, v63
	v_add_co_ci_u32_e32 v31, vcc_lo, v57, v64, vcc_lo
	v_lshlrev_b64 v[65:66], 3, v[32:33]
	v_add_co_u32 v32, vcc_lo, v2, v58
	v_add_co_ci_u32_e32 v33, vcc_lo, v3, v59, vcc_lo
	v_add_co_u32 v34, vcc_lo, v2, v61
	v_add_co_ci_u32_e32 v35, vcc_lo, v3, v62, vcc_lo
	;; [unrolled: 2-line block ×3, first 2 shown]
	v_fma_f64 v[2:3], v[4:5], v[67:68], 1.0
	v_fma_f64 v[4:5], v[6:7], v[69:70], 1.0
	s_lshl_b64 s[10:11], s[14:15], 3
	s_lshl_b64 s[12:13], s[16:17], 3
	;; [unrolled: 1-line block ×3, first 2 shown]
	v_fma_f64 v[47:48], v[16:17], v[50:51], 0xc0180000
	v_fma_f64 v[49:50], v[18:19], v[52:53], 0xc0180000
	v_fma_f64 v[6:7], v[10:11], v[38:39], 0x40080000
	v_fma_f64 v[8:9], v[8:9], v[40:41], 1.0
	v_fma_f64 v[10:11], v[14:15], v[42:43], 0x40080000
	v_fma_f64 v[12:13], v[12:13], v[45:46], 1.0
	v_add_co_u32 v38, vcc_lo, v58, v65
	v_mov_b32_e32 v45, v60
	v_add_co_ci_u32_e32 v39, vcc_lo, v59, v66, vcc_lo
	v_add_co_u32 v40, vcc_lo, v54, v65
	v_add_co_ci_u32_e32 v41, vcc_lo, v55, v66, vcc_lo
	v_add_co_u32 v42, vcc_lo, v65, v61
	v_add_co_ci_u32_e32 v43, vcc_lo, v66, v62, vcc_lo
	v_fma_f64 v[14:15], v[16:17], v[47:48], 0x40080000
	v_fma_f64 v[16:17], v[18:19], v[49:50], 0x40080000
	v_lshlrev_b64 v[18:19], 3, v[44:45]
	v_add_co_u32 v44, vcc_lo, v63, v65
	v_add_co_ci_u32_e32 v45, vcc_lo, v64, v66, vcc_lo
	s_delay_alu instid0(VALU_DEP_3) | instskip(NEXT) | instid1(VALU_DEP_4)
	v_add_co_u32 v46, vcc_lo, v58, v18
	v_add_co_ci_u32_e32 v47, vcc_lo, v59, v19, vcc_lo
	v_add_co_u32 v48, vcc_lo, v54, v18
	v_add_co_ci_u32_e32 v49, vcc_lo, v55, v19, vcc_lo
	;; [unrolled: 2-line block ×4, first 2 shown]
	s_branch .LBB1_13
.LBB1_12:                               ;   in Loop: Header=BB1_13 Depth=1
	v_add_co_u32 v0, vcc_lo, v0, s8
	s_add_i32 s5, s5, 1
	v_add_co_ci_u32_e32 v1, vcc_lo, s9, v1, vcc_lo
	s_add_u32 s2, s2, s12
	s_addc_u32 s3, s3, s13
	s_cmp_lg_u32 s5, s4
	s_cbranch_scc0 .LBB1_15
.LBB1_13:                               ; =>This Loop Header: Depth=1
                                        ;     Child Loop BB1_14 Depth 2
	v_dual_mov_b32 v19, v1 :: v_dual_mov_b32 v18, v0
	s_and_not1_b32 vcc_lo, exec_lo, s7
	s_mov_b64 s[16:17], s[2:3]
	s_mov_b32 s18, s6
	s_cbranch_vccnz .LBB1_12
.LBB1_14:                               ;   Parent Loop BB1_13 Depth=1
                                        ; =>  This Inner Loop Header: Depth=2
	v_add_co_u32 v54, vcc_lo, s16, v26
	v_add_co_ci_u32_e32 v55, vcc_lo, s17, v27, vcc_lo
	v_add_co_u32 v56, vcc_lo, s16, v24
	v_add_co_ci_u32_e32 v57, vcc_lo, s17, v25, vcc_lo
	v_add_co_u32 v58, vcc_lo, s16, v22
	s_clause 0x1
	global_load_b64 v[54:55], v[54:55], off
	global_load_b64 v[56:57], v[56:57], off
	v_add_co_ci_u32_e32 v59, vcc_lo, s17, v23, vcc_lo
	v_add_co_u32 v60, vcc_lo, s16, v32
	v_add_co_ci_u32_e32 v61, vcc_lo, s17, v33, vcc_lo
	s_clause 0x1
	global_load_b64 v[58:59], v[58:59], off
	global_load_b64 v[60:61], v[60:61], off
	v_add_co_u32 v62, vcc_lo, s16, v28
	v_add_co_ci_u32_e32 v63, vcc_lo, s17, v29, vcc_lo
	v_add_co_u32 v64, vcc_lo, s16, v40
	v_add_co_ci_u32_e32 v65, vcc_lo, s17, v41, vcc_lo
	;; [unrolled: 2-line block ×3, first 2 shown]
	s_clause 0x2
	global_load_b64 v[64:65], v[64:65], off
	global_load_b64 v[62:63], v[62:63], off
	;; [unrolled: 1-line block ×3, first 2 shown]
	v_add_co_u32 v68, vcc_lo, s16, v30
	v_add_co_ci_u32_e32 v69, vcc_lo, s17, v31, vcc_lo
	v_add_co_u32 v70, vcc_lo, s16, v34
	v_add_co_ci_u32_e32 v71, vcc_lo, s17, v35, vcc_lo
	;; [unrolled: 2-line block ×4, first 2 shown]
	s_clause 0x3
	global_load_b64 v[72:73], v[72:73], off
	global_load_b64 v[70:71], v[70:71], off
	;; [unrolled: 1-line block ×4, first 2 shown]
	v_add_co_u32 v76, vcc_lo, s16, v42
	v_add_co_ci_u32_e32 v77, vcc_lo, s17, v43, vcc_lo
	v_add_co_u32 v78, vcc_lo, s16, v36
	v_add_co_ci_u32_e32 v79, vcc_lo, s17, v37, vcc_lo
	s_clause 0x1
	global_load_b64 v[76:77], v[76:77], off
	global_load_b64 v[78:79], v[78:79], off
	v_add_co_u32 v80, vcc_lo, s16, v50
	v_add_co_ci_u32_e32 v81, vcc_lo, s17, v51, vcc_lo
	v_add_co_u32 v82, vcc_lo, s16, v44
	v_add_co_ci_u32_e32 v83, vcc_lo, s17, v45, vcc_lo
	s_clause 0x1
	global_load_b64 v[80:81], v[80:81], off
	global_load_b64 v[82:83], v[82:83], off
	v_add_co_u32 v84, vcc_lo, s16, v52
	v_add_co_ci_u32_e32 v85, vcc_lo, s17, v53, vcc_lo
	s_add_i32 s18, s18, -1
	s_add_u32 s16, s16, s14
	s_addc_u32 s17, s17, s15
	global_load_b64 v[84:85], v[84:85], off
	s_cmp_lg_u32 s18, 0
	s_waitcnt vmcnt(15)
	v_mul_f64 v[54:55], v[2:3], v[54:55]
	s_waitcnt vmcnt(13)
	v_mul_f64 v[58:59], v[2:3], v[58:59]
	s_delay_alu instid0(VALU_DEP_2) | instskip(SKIP_2) | instid1(VALU_DEP_3)
	v_fma_f64 v[54:55], v[6:7], v[56:57], v[54:55]
	s_waitcnt vmcnt(11)
	v_mul_f64 v[56:57], v[2:3], v[64:65]
	v_fma_f64 v[58:59], v[6:7], v[60:61], v[58:59]
	s_waitcnt vmcnt(8)
	v_mul_f64 v[60:61], v[2:3], v[72:73]
	s_delay_alu instid0(VALU_DEP_4) | instskip(NEXT) | instid1(VALU_DEP_4)
	v_fma_f64 v[54:55], v[8:9], v[62:63], v[54:55]
	v_fma_f64 v[56:57], v[6:7], v[66:67], v[56:57]
	s_waitcnt vmcnt(7)
	s_delay_alu instid0(VALU_DEP_4) | instskip(SKIP_1) | instid1(VALU_DEP_4)
	v_fma_f64 v[58:59], v[8:9], v[70:71], v[58:59]
	s_waitcnt vmcnt(5)
	v_fma_f64 v[60:61], v[6:7], v[74:75], v[60:61]
	s_delay_alu instid0(VALU_DEP_4) | instskip(SKIP_1) | instid1(VALU_DEP_4)
	v_fma_f64 v[54:55], v[14:15], v[68:69], v[54:55]
	s_waitcnt vmcnt(4)
	v_fma_f64 v[56:57], v[8:9], v[76:77], v[56:57]
	s_waitcnt vmcnt(3)
	s_delay_alu instid0(VALU_DEP_4) | instskip(SKIP_1) | instid1(VALU_DEP_4)
	v_fma_f64 v[58:59], v[14:15], v[78:79], v[58:59]
	s_waitcnt vmcnt(2)
	v_fma_f64 v[60:61], v[8:9], v[80:81], v[60:61]
	s_delay_alu instid0(VALU_DEP_4) | instskip(SKIP_1) | instid1(VALU_DEP_4)
	v_mul_f64 v[54:55], v[10:11], v[54:55]
	s_waitcnt vmcnt(1)
	v_fma_f64 v[56:57], v[14:15], v[82:83], v[56:57]
	s_delay_alu instid0(VALU_DEP_2) | instskip(SKIP_1) | instid1(VALU_DEP_4)
	v_fma_f64 v[54:55], v[4:5], v[58:59], v[54:55]
	s_waitcnt vmcnt(0)
	v_fma_f64 v[58:59], v[14:15], v[84:85], v[60:61]
	s_delay_alu instid0(VALU_DEP_2) | instskip(NEXT) | instid1(VALU_DEP_1)
	v_fma_f64 v[54:55], v[12:13], v[56:57], v[54:55]
	v_fma_f64 v[54:55], v[16:17], v[58:59], v[54:55]
	global_store_b64 v[18:19], v[54:55], off
	v_add_co_u32 v18, vcc_lo, v18, s10
	v_add_co_ci_u32_e32 v19, vcc_lo, s11, v19, vcc_lo
	s_cbranch_scc1 .LBB1_14
	s_branch .LBB1_12
.LBB1_15:
	s_mov_b32 s2, 0
.LBB1_16:
	s_delay_alu instid0(SALU_CYCLE_1)
	s_and_b32 vcc_lo, exec_lo, s2
	s_cbranch_vccz .LBB1_22
; %bb.17:
	s_cmp_lt_i32 s4, 1
	s_cbranch_scc1 .LBB1_22
; %bb.18:
	s_clause 0x1
	s_load_b256 s[8:15], s[0:1], 0x48
	s_load_b256 s[16:23], s[0:1], 0x90
	v_ashrrev_i32_e32 v4, 31, v20
	s_clause 0x1
	s_load_b64 s[2:3], s[0:1], 0x20
	s_load_b64 s[0:1], s[0:1], 0x68
	v_ashrrev_i32_e32 v6, 31, v21
	s_cmp_gt_i32 s6, 0
	s_mov_b32 s5, 0
	s_cselect_b32 s7, -1, 0
	s_waitcnt lgkmcnt(0)
	v_mul_lo_u32 v8, s13, v20
	v_mul_lo_u32 v9, s12, v4
	v_mad_u64_u32 v[0:1], null, s12, v20, 0
	v_mul_lo_u32 v12, s21, v20
	v_mul_lo_u32 v13, s20, v4
	v_mad_u64_u32 v[4:5], null, s20, v20, 0
	;; [unrolled: 3-line block ×3, first 2 shown]
	v_add3_u32 v1, v1, v9, v8
	v_mul_lo_u32 v14, s23, v21
	v_mul_lo_u32 v15, s22, v6
	v_mad_u64_u32 v[6:7], null, s22, v21, 0
	v_add3_u32 v5, v5, v13, v12
	v_lshlrev_b64 v[0:1], 3, v[0:1]
	v_add3_u32 v3, v3, v11, v10
	s_lshl_b64 s[8:9], s[8:9], 3
	s_lshl_b64 s[10:11], s[10:11], 3
	v_lshlrev_b64 v[4:5], 3, v[4:5]
	v_add3_u32 v7, v7, v15, v14
	v_lshlrev_b64 v[2:3], 3, v[2:3]
	v_add_co_u32 v0, vcc_lo, s2, v0
	v_add_co_ci_u32_e32 v1, vcc_lo, s3, v1, vcc_lo
	s_delay_alu instid0(VALU_DEP_4) | instskip(SKIP_4) | instid1(VALU_DEP_4)
	v_lshlrev_b64 v[6:7], 3, v[6:7]
	v_add_co_u32 v4, vcc_lo, s0, v4
	v_add_co_ci_u32_e32 v5, vcc_lo, s1, v5, vcc_lo
	v_add_co_u32 v0, vcc_lo, v0, v2
	v_add_co_ci_u32_e32 v1, vcc_lo, v1, v3, vcc_lo
	v_add_co_u32 v2, vcc_lo, v4, v6
	s_delay_alu instid0(VALU_DEP_4)
	v_add_co_ci_u32_e32 v3, vcc_lo, v5, v7, vcc_lo
	s_lshl_b64 s[0:1], s[16:17], 3
	s_lshl_b64 s[2:3], s[18:19], 3
	s_set_inst_prefetch_distance 0x1
	s_branch .LBB1_20
	.p2align	6
.LBB1_19:                               ;   in Loop: Header=BB1_20 Depth=1
	v_add_co_u32 v2, vcc_lo, v2, s0
	v_add_co_ci_u32_e32 v3, vcc_lo, s1, v3, vcc_lo
	v_add_co_u32 v0, vcc_lo, v0, s8
	v_add_co_ci_u32_e32 v1, vcc_lo, s9, v1, vcc_lo
	s_add_i32 s5, s5, 1
	s_delay_alu instid0(SALU_CYCLE_1)
	s_cmp_eq_u32 s5, s4
	s_cbranch_scc1 .LBB1_22
.LBB1_20:                               ; =>This Loop Header: Depth=1
                                        ;     Child Loop BB1_21 Depth 2
	s_delay_alu instid0(VALU_DEP_1)
	v_dual_mov_b32 v5, v1 :: v_dual_mov_b32 v4, v0
	v_dual_mov_b32 v7, v3 :: v_dual_mov_b32 v6, v2
	s_and_not1_b32 vcc_lo, exec_lo, s7
	s_mov_b32 s12, s6
	s_cbranch_vccnz .LBB1_19
.LBB1_21:                               ;   Parent Loop BB1_20 Depth=1
                                        ; =>  This Inner Loop Header: Depth=2
	global_load_b64 v[8:9], v[4:5], off
	v_add_co_u32 v4, vcc_lo, v4, s10
	v_add_co_ci_u32_e32 v5, vcc_lo, s11, v5, vcc_lo
	s_add_i32 s12, s12, -1
	s_delay_alu instid0(SALU_CYCLE_1)
	s_cmp_eq_u32 s12, 0
	s_waitcnt vmcnt(0)
	global_store_b64 v[6:7], v[8:9], off
	v_add_co_u32 v6, vcc_lo, v6, s2
	v_add_co_ci_u32_e32 v7, vcc_lo, s3, v7, vcc_lo
	s_cbranch_scc0 .LBB1_21
	s_branch .LBB1_19
.LBB1_22:
	s_set_inst_prefetch_distance 0x2
	s_nop 0
	s_sendmsg sendmsg(MSG_DEALLOC_VGPRS)
	s_endpgm
	.section	.rodata,"a",@progbits
	.p2align	6, 0x0
	.amdhsa_kernel _ZN2at6native12_GLOBAL__N_128upsample_bicubic2d_out_frameIddEEviT0_S3_bN5torch10headeronly6detail27GenericPackedTensorAccessorINS6_14TensorAccessorIN3c108ArrayRefIlEEKT_Lm3ENS5_16DefaultPtrTraitsElEENS_6detail16IndexBoundsCheckILm4ElEESD_Lm4ESE_lEENS7_INS8_ISB_SC_Lm3ESE_lEESI_SC_Lm4ESE_lEE
		.amdhsa_group_segment_fixed_size 0
		.amdhsa_private_segment_fixed_size 0
		.amdhsa_kernarg_size 432
		.amdhsa_user_sgpr_count 15
		.amdhsa_user_sgpr_dispatch_ptr 0
		.amdhsa_user_sgpr_queue_ptr 0
		.amdhsa_user_sgpr_kernarg_segment_ptr 1
		.amdhsa_user_sgpr_dispatch_id 0
		.amdhsa_user_sgpr_private_segment_size 0
		.amdhsa_wavefront_size32 1
		.amdhsa_uses_dynamic_stack 0
		.amdhsa_enable_private_segment 0
		.amdhsa_system_sgpr_workgroup_id_x 1
		.amdhsa_system_sgpr_workgroup_id_y 0
		.amdhsa_system_sgpr_workgroup_id_z 0
		.amdhsa_system_sgpr_workgroup_info 0
		.amdhsa_system_vgpr_workitem_id 0
		.amdhsa_next_free_vgpr 86
		.amdhsa_next_free_sgpr 30
		.amdhsa_reserve_vcc 1
		.amdhsa_float_round_mode_32 0
		.amdhsa_float_round_mode_16_64 0
		.amdhsa_float_denorm_mode_32 3
		.amdhsa_float_denorm_mode_16_64 3
		.amdhsa_dx10_clamp 1
		.amdhsa_ieee_mode 1
		.amdhsa_fp16_overflow 0
		.amdhsa_workgroup_processor_mode 1
		.amdhsa_memory_ordered 1
		.amdhsa_forward_progress 0
		.amdhsa_shared_vgpr_count 0
		.amdhsa_exception_fp_ieee_invalid_op 0
		.amdhsa_exception_fp_denorm_src 0
		.amdhsa_exception_fp_ieee_div_zero 0
		.amdhsa_exception_fp_ieee_overflow 0
		.amdhsa_exception_fp_ieee_underflow 0
		.amdhsa_exception_fp_ieee_inexact 0
		.amdhsa_exception_int_div_zero 0
	.end_amdhsa_kernel
	.section	.text._ZN2at6native12_GLOBAL__N_128upsample_bicubic2d_out_frameIddEEviT0_S3_bN5torch10headeronly6detail27GenericPackedTensorAccessorINS6_14TensorAccessorIN3c108ArrayRefIlEEKT_Lm3ENS5_16DefaultPtrTraitsElEENS_6detail16IndexBoundsCheckILm4ElEESD_Lm4ESE_lEENS7_INS8_ISB_SC_Lm3ESE_lEESI_SC_Lm4ESE_lEE,"axG",@progbits,_ZN2at6native12_GLOBAL__N_128upsample_bicubic2d_out_frameIddEEviT0_S3_bN5torch10headeronly6detail27GenericPackedTensorAccessorINS6_14TensorAccessorIN3c108ArrayRefIlEEKT_Lm3ENS5_16DefaultPtrTraitsElEENS_6detail16IndexBoundsCheckILm4ElEESD_Lm4ESE_lEENS7_INS8_ISB_SC_Lm3ESE_lEESI_SC_Lm4ESE_lEE,comdat
.Lfunc_end1:
	.size	_ZN2at6native12_GLOBAL__N_128upsample_bicubic2d_out_frameIddEEviT0_S3_bN5torch10headeronly6detail27GenericPackedTensorAccessorINS6_14TensorAccessorIN3c108ArrayRefIlEEKT_Lm3ENS5_16DefaultPtrTraitsElEENS_6detail16IndexBoundsCheckILm4ElEESD_Lm4ESE_lEENS7_INS8_ISB_SC_Lm3ESE_lEESI_SC_Lm4ESE_lEE, .Lfunc_end1-_ZN2at6native12_GLOBAL__N_128upsample_bicubic2d_out_frameIddEEviT0_S3_bN5torch10headeronly6detail27GenericPackedTensorAccessorINS6_14TensorAccessorIN3c108ArrayRefIlEEKT_Lm3ENS5_16DefaultPtrTraitsElEENS_6detail16IndexBoundsCheckILm4ElEESD_Lm4ESE_lEENS7_INS8_ISB_SC_Lm3ESE_lEESI_SC_Lm4ESE_lEE
                                        ; -- End function
	.section	.AMDGPU.csdata,"",@progbits
; Kernel info:
; codeLenInByte = 2776
; NumSgprs: 32
; NumVgprs: 86
; ScratchSize: 0
; MemoryBound: 0
; FloatMode: 240
; IeeeMode: 1
; LDSByteSize: 0 bytes/workgroup (compile time only)
; SGPRBlocks: 3
; VGPRBlocks: 10
; NumSGPRsForWavesPerEU: 32
; NumVGPRsForWavesPerEU: 86
; Occupancy: 16
; WaveLimiterHint : 1
; COMPUTE_PGM_RSRC2:SCRATCH_EN: 0
; COMPUTE_PGM_RSRC2:USER_SGPR: 15
; COMPUTE_PGM_RSRC2:TRAP_HANDLER: 0
; COMPUTE_PGM_RSRC2:TGID_X_EN: 1
; COMPUTE_PGM_RSRC2:TGID_Y_EN: 0
; COMPUTE_PGM_RSRC2:TGID_Z_EN: 0
; COMPUTE_PGM_RSRC2:TIDIG_COMP_CNT: 0
	.section	.text._ZN2at6native12_GLOBAL__N_137upsample_bicubic2d_out_frame_parallelIffEEviT0_S3_bN5torch10headeronly6detail27GenericPackedTensorAccessorINS6_14TensorAccessorIN3c108ArrayRefIlEEKT_Lm3ENS5_16DefaultPtrTraitsElEENS_6detail16IndexBoundsCheckILm4ElEESD_Lm4ESE_lEENS7_INS8_ISB_SC_Lm3ESE_lEESI_SC_Lm4ESE_lEE,"axG",@progbits,_ZN2at6native12_GLOBAL__N_137upsample_bicubic2d_out_frame_parallelIffEEviT0_S3_bN5torch10headeronly6detail27GenericPackedTensorAccessorINS6_14TensorAccessorIN3c108ArrayRefIlEEKT_Lm3ENS5_16DefaultPtrTraitsElEENS_6detail16IndexBoundsCheckILm4ElEESD_Lm4ESE_lEENS7_INS8_ISB_SC_Lm3ESE_lEESI_SC_Lm4ESE_lEE,comdat
	.globl	_ZN2at6native12_GLOBAL__N_137upsample_bicubic2d_out_frame_parallelIffEEviT0_S3_bN5torch10headeronly6detail27GenericPackedTensorAccessorINS6_14TensorAccessorIN3c108ArrayRefIlEEKT_Lm3ENS5_16DefaultPtrTraitsElEENS_6detail16IndexBoundsCheckILm4ElEESD_Lm4ESE_lEENS7_INS8_ISB_SC_Lm3ESE_lEESI_SC_Lm4ESE_lEE ; -- Begin function _ZN2at6native12_GLOBAL__N_137upsample_bicubic2d_out_frame_parallelIffEEviT0_S3_bN5torch10headeronly6detail27GenericPackedTensorAccessorINS6_14TensorAccessorIN3c108ArrayRefIlEEKT_Lm3ENS5_16DefaultPtrTraitsElEENS_6detail16IndexBoundsCheckILm4ElEESD_Lm4ESE_lEENS7_INS8_ISB_SC_Lm3ESE_lEESI_SC_Lm4ESE_lEE
	.p2align	8
	.type	_ZN2at6native12_GLOBAL__N_137upsample_bicubic2d_out_frame_parallelIffEEviT0_S3_bN5torch10headeronly6detail27GenericPackedTensorAccessorINS6_14TensorAccessorIN3c108ArrayRefIlEEKT_Lm3ENS5_16DefaultPtrTraitsElEENS_6detail16IndexBoundsCheckILm4ElEESD_Lm4ESE_lEENS7_INS8_ISB_SC_Lm3ESE_lEESI_SC_Lm4ESE_lEE,@function
_ZN2at6native12_GLOBAL__N_137upsample_bicubic2d_out_frame_parallelIffEEviT0_S3_bN5torch10headeronly6detail27GenericPackedTensorAccessorINS6_14TensorAccessorIN3c108ArrayRefIlEEKT_Lm3ENS5_16DefaultPtrTraitsElEENS_6detail16IndexBoundsCheckILm4ElEESD_Lm4ESE_lEENS7_INS8_ISB_SC_Lm3ESE_lEESI_SC_Lm4ESE_lEE: ; @_ZN2at6native12_GLOBAL__N_137upsample_bicubic2d_out_frame_parallelIffEEviT0_S3_bN5torch10headeronly6detail27GenericPackedTensorAccessorINS6_14TensorAccessorIN3c108ArrayRefIlEEKT_Lm3ENS5_16DefaultPtrTraitsElEENS_6detail16IndexBoundsCheckILm4ElEESD_Lm4ESE_lEENS7_INS8_ISB_SC_Lm3ESE_lEESI_SC_Lm4ESE_lEE
; %bb.0:
	s_clause 0x1
	s_load_b32 s2, s[0:1], 0xac
	s_load_b128 s[4:7], s[0:1], 0x0
	s_add_u32 s34, s0, 0xa0
	s_addc_u32 s35, s1, 0
	s_waitcnt lgkmcnt(0)
	s_and_b32 s2, s2, 0xffff
	s_delay_alu instid0(SALU_CYCLE_1) | instskip(SKIP_1) | instid1(VALU_DEP_1)
	v_mad_u64_u32 v[1:2], null, s14, s2, v[0:1]
	s_mov_b32 s2, exec_lo
	v_cmpx_gt_i32_e64 s4, v1
	s_cbranch_execz .LBB2_10
; %bb.1:
	s_clause 0x1
	s_load_b128 s[8:11], s[0:1], 0x70
	s_load_b32 s4, s[0:1], 0x18
	v_sub_nc_u32_e32 v3, 0, v1
	s_delay_alu instid0(VALU_DEP_1) | instskip(SKIP_2) | instid1(SALU_CYCLE_1)
	v_max_i32_e32 v3, v1, v3
	s_waitcnt lgkmcnt(0)
	s_abs_i32 s2, s10
	v_cvt_f32_u32_e32 v0, s2
	s_sub_i32 s3, 0, s2
	s_delay_alu instid0(VALU_DEP_1) | instskip(SKIP_2) | instid1(VALU_DEP_1)
	v_rcp_iflag_f32_e32 v0, v0
	s_waitcnt_depctr 0xfff
	v_mul_f32_e32 v0, 0x4f7ffffe, v0
	v_cvt_u32_f32_e32 v0, v0
	s_delay_alu instid0(VALU_DEP_1) | instskip(SKIP_3) | instid1(VALU_DEP_1)
	v_mul_lo_u32 v2, s3, v0
	s_clause 0x1
	s_load_b128 s[28:31], s[0:1], 0x20
	s_load_b32 s3, s[0:1], 0x30
	v_mul_hi_u32 v2, v0, v2
	s_delay_alu instid0(VALU_DEP_1) | instskip(SKIP_2) | instid1(VALU_DEP_1)
	v_add_nc_u32_e32 v0, v0, v2
	s_waitcnt lgkmcnt(0)
	s_cmp_lg_u32 s30, s8
	v_mul_hi_u32 v0, v3, v0
	s_mul_i32 s29, s28, s4
	s_mov_b32 s4, -1
	s_delay_alu instid0(VALU_DEP_1) | instskip(NEXT) | instid1(VALU_DEP_1)
	v_mul_lo_u32 v2, v0, s2
	v_sub_nc_u32_e32 v2, v3, v2
	v_add_nc_u32_e32 v3, 1, v0
	s_delay_alu instid0(VALU_DEP_2) | instskip(SKIP_1) | instid1(VALU_DEP_3)
	v_subrev_nc_u32_e32 v4, s2, v2
	v_cmp_le_u32_e32 vcc_lo, s2, v2
	v_cndmask_b32_e32 v0, v0, v3, vcc_lo
	s_delay_alu instid0(VALU_DEP_3) | instskip(SKIP_1) | instid1(VALU_DEP_3)
	v_cndmask_b32_e32 v2, v2, v4, vcc_lo
	v_xor_b32_e32 v3, s10, v1
	v_add_nc_u32_e32 v4, 1, v0
	s_delay_alu instid0(VALU_DEP_3) | instskip(NEXT) | instid1(VALU_DEP_3)
	v_cmp_le_u32_e32 vcc_lo, s2, v2
	v_ashrrev_i32_e32 v3, 31, v3
	s_cselect_b32 s2, -1, 0
	s_cmp_lg_u32 s3, s10
	v_cndmask_b32_e32 v0, v0, v4, vcc_lo
	s_cselect_b32 s8, -1, 0
	s_delay_alu instid0(SALU_CYCLE_1) | instskip(SKIP_1) | instid1(VALU_DEP_1)
	s_or_b32 s2, s8, s2
	s_cmp_lt_i32 s15, s29
	v_xor_b32_e32 v0, v0, v3
	s_cselect_b32 s31, -1, 0
	s_and_b32 vcc_lo, exec_lo, s2
	v_cndmask_b32_e64 v2, 0, 1, s31
	s_delay_alu instid0(VALU_DEP_2) | instskip(NEXT) | instid1(VALU_DEP_2)
	v_sub_nc_u32_e32 v20, v0, v3
	v_cmp_ne_u32_e64 s2, 1, v2
	s_delay_alu instid0(VALU_DEP_2) | instskip(NEXT) | instid1(VALU_DEP_1)
	v_mul_lo_u32 v0, v20, s10
	v_sub_nc_u32_e32 v21, v1, v0
	s_cbranch_vccz .LBB2_6
; %bb.2:
	s_delay_alu instid0(VALU_DEP_3)
	s_and_b32 vcc_lo, exec_lo, s2
	s_cbranch_vccnz .LBB2_5
; %bb.3:
	v_cvt_f32_i32_e32 v0, v20
	v_cvt_f32_i32_e32 v1, v21
	s_bitcmp1_b32 s7, 0
	s_load_b256 s[20:27], s[0:1], 0x38
	s_cselect_b32 vcc_lo, -1, 0
	s_delay_alu instid0(VALU_DEP_1) | instskip(SKIP_2) | instid1(VALU_DEP_2)
	v_dual_add_f32 v2, 0.5, v0 :: v_dual_add_f32 v3, 0.5, v1
	v_dual_mul_f32 v0, s5, v0 :: v_dual_mul_f32 v1, s6, v1
	s_add_i32 s3, s3, -1
	v_fma_f32 v2, v2, s5, -0.5
	s_delay_alu instid0(VALU_DEP_3)
	v_fma_f32 v3, v3, s6, -0.5
	s_mov_b32 s2, 0xbf400000
	s_mov_b32 s4, 0x3fa00000
	s_load_b256 s[36:43], s[0:1], 0x80
	v_cndmask_b32_e32 v14, v2, v0, vcc_lo
	v_cndmask_b32_e32 v0, v3, v1, vcc_lo
	s_add_i32 s5, s30, -1
	s_clause 0x1
	s_load_b64 s[18:19], s[0:1], 0x10
	s_load_b64 s[44:45], s[0:1], 0x58
	s_sub_i32 s30, 0, s28
	s_mov_b32 s33, s15
	v_floor_f32_e32 v1, v0
	s_delay_alu instid0(VALU_DEP_1) | instskip(NEXT) | instid1(VALU_DEP_1)
	v_cvt_i32_f32_e32 v1, v1
	v_add_nc_u32_e32 v3, -1, v1
	v_floor_f32_e32 v2, v14
	v_minmax_i32 v12, v1, s3, 0
	s_waitcnt lgkmcnt(0)
	v_mul_lo_u32 v32, s43, v21
	v_mul_lo_u32 v30, s41, v20
	v_minmax_i32 v13, v3, s3, 0
	v_cvt_i32_f32_e32 v15, v2
	v_cvt_f32_i32_e32 v2, v1
	v_mad_u64_u32 v[4:5], null, s26, v12, 0
	s_delay_alu instid0(VALU_DEP_2) | instskip(SKIP_2) | instid1(VALU_DEP_4)
	v_sub_f32_e32 v16, v0, v2
	v_mad_u64_u32 v[2:3], null, s26, v13, 0
	v_add_nc_u32_e32 v6, 1, v1
	v_dual_mov_b32 v0, v5 :: v_dual_add_nc_u32 v1, 2, v1
	v_cvt_f32_i32_e32 v5, v15
	s_delay_alu instid0(VALU_DEP_2) | instskip(SKIP_2) | instid1(VALU_DEP_3)
	v_minmax_i32 v18, v1, s3, 0
	v_mov_b32_e32 v1, v3
	v_minmax_i32 v17, v6, s3, 0
	v_mad_u64_u32 v[8:9], null, s26, v18, 0
	s_delay_alu instid0(VALU_DEP_2) | instskip(NEXT) | instid1(VALU_DEP_4)
	v_mad_u64_u32 v[6:7], null, s26, v17, 0
	v_mad_u64_u32 v[10:11], null, s27, v12, v[0:1]
	;; [unrolled: 1-line block ×3, first 2 shown]
	s_delay_alu instid0(VALU_DEP_4) | instskip(NEXT) | instid1(VALU_DEP_4)
	v_mov_b32_e32 v3, v9
	v_dual_add_f32 v19, 1.0, v16 :: v_dual_mov_b32 v0, v7
	s_abs_i32 s26, s28
	s_delay_alu instid0(SALU_CYCLE_1) | instskip(NEXT) | instid1(VALU_DEP_1)
	s_sub_i32 s3, 0, s26
	v_mad_u64_u32 v[12:13], null, s27, v17, v[0:1]
	v_mad_u64_u32 v[0:1], null, s27, v18, v[3:4]
	v_add_nc_u32_e32 v1, -1, v15
	v_dual_sub_f32 v13, v14, v5 :: v_dual_sub_f32 v14, 1.0, v16
	v_fmaak_f32 v17, s2, v19, 0x40700000
	v_mov_b32_e32 v5, v10
	v_mov_b32_e32 v3, v11
	v_dual_mov_b32 v9, v0 :: v_dual_fmaak_f32 v0, s4, v16, 0xc0100000
	s_delay_alu instid0(VALU_DEP_4) | instskip(SKIP_2) | instid1(VALU_DEP_4)
	v_dual_add_f32 v10, 1.0, v14 :: v_dual_fmaak_f32 v11, v19, v17, 0xc0c00000
	v_sub_f32_e32 v28, 1.0, v13
	v_ashrrev_i32_e32 v18, 31, v21
	v_mul_f32_e32 v0, v16, v0
	s_delay_alu instid0(VALU_DEP_4) | instskip(SKIP_2) | instid1(VALU_DEP_4)
	v_dual_mov_b32 v7, v12 :: v_dual_fmaak_f32 v22, v19, v11, 0x40400000
	v_fmaak_f32 v12, s4, v14, 0xc0100000
	v_fmaak_f32 v17, s2, v10, 0x40700000
	v_fma_f32 v23, v16, v0, 1.0
	v_mul_lo_u32 v33, s42, v18
	v_mad_u64_u32 v[18:19], null, s42, v21, 0
	v_dual_mul_f32 v11, v14, v12 :: v_dual_add_f32 v12, 1.0, v13
	v_ashrrev_i32_e32 v16, 31, v20
	v_minmax_i32 v34, v1, s5, 0
	v_lshlrev_b64 v[4:5], 2, v[4:5]
	s_delay_alu instid0(VALU_DEP_4)
	v_fma_f32 v24, v14, v11, 1.0
	v_fmaak_f32 v14, s4, v13, 0xc0100000
	v_fmaak_f32 v11, s2, v12, 0x40700000
	v_add3_u32 v19, v19, v33, v32
	v_minmax_i32 v33, v15, s5, 0
	v_mul_lo_u32 v31, s40, v16
	v_mul_f32_e32 v14, v13, v14
	v_dual_fmaak_f32 v0, v10, v17, 0xc0c00000 :: v_dual_fmaak_f32 v11, v12, v11, 0xc0c00000
	v_mad_u64_u32 v[16:17], null, s40, v20, 0
	s_delay_alu instid0(VALU_DEP_3) | instskip(NEXT) | instid1(VALU_DEP_3)
	v_fma_f32 v27, v13, v14, 1.0
	v_fmaak_f32 v25, v10, v0, 0x40400000
	v_add_f32_e32 v10, 1.0, v28
	v_dual_fmaak_f32 v0, s4, v28, 0xc0100000 :: v_dual_add_nc_u32 v13, 2, v15
	v_lshlrev_b64 v[6:7], 2, v[6:7]
	v_add3_u32 v17, v17, v31, v30
	s_delay_alu instid0(VALU_DEP_4) | instskip(NEXT) | instid1(VALU_DEP_4)
	v_fmaak_f32 v26, s2, v10, 0x40700000
	v_mul_f32_e32 v0, v28, v0
	v_minmax_i32 v36, v13, s5, 0
	v_lshlrev_b64 v[8:9], 2, v[8:9]
	v_lshlrev_b64 v[16:17], 2, v[16:17]
	v_fmaak_f32 v29, v10, v26, 0xc0c00000
	v_fmaak_f32 v26, v12, v11, 0x40400000
	v_cvt_f32_u32_e32 v12, s26
	v_fma_f32 v28, v28, v0, 1.0
	v_mad_u64_u32 v[0:1], null, s24, v34, 0
	v_dual_fmaak_f32 v29, v10, v29, 0x40400000 :: v_dual_add_nc_u32 v10, 1, v15
	s_delay_alu instid0(VALU_DEP_4) | instskip(SKIP_2) | instid1(VALU_DEP_3)
	v_rcp_iflag_f32_e32 v32, v12
	v_mad_u64_u32 v[14:15], null, s24, v36, 0
	v_lshlrev_b64 v[18:19], 2, v[18:19]
	v_minmax_i32 v35, v10, s5, 0
	v_mad_u64_u32 v[10:11], null, s24, v33, 0
	v_mad_u64_u32 v[30:31], null, s25, v34, v[1:2]
	s_delay_alu instid0(VALU_DEP_3) | instskip(NEXT) | instid1(TRANS32_DEP_1)
	v_mad_u64_u32 v[12:13], null, s24, v35, 0
	v_mul_f32_e32 v34, 0x4f7ffffe, v32
	s_load_b32 s24, s[34:35], 0x8
	s_delay_alu instid0(VALU_DEP_2) | instskip(NEXT) | instid1(VALU_DEP_3)
	v_mov_b32_e32 v1, v13
	v_mad_u64_u32 v[31:32], null, s25, v33, v[11:12]
	v_mov_b32_e32 v11, v15
	s_delay_alu instid0(VALU_DEP_3) | instskip(SKIP_2) | instid1(VALU_DEP_4)
	v_mad_u64_u32 v[32:33], null, s25, v35, v[1:2]
	v_mov_b32_e32 v1, v30
	v_cvt_u32_f32_e32 v13, v34
	v_mad_u64_u32 v[33:34], null, s25, v36, v[11:12]
	v_mov_b32_e32 v11, v31
	s_delay_alu instid0(VALU_DEP_4) | instskip(NEXT) | instid1(VALU_DEP_4)
	v_lshlrev_b64 v[0:1], 2, v[0:1]
	v_readfirstlane_b32 s2, v13
	v_mov_b32_e32 v13, v32
	v_lshlrev_b64 v[2:3], 2, v[2:3]
	v_lshlrev_b64 v[10:11], 2, v[10:11]
	v_mov_b32_e32 v15, v33
	s_mul_i32 s3, s3, s2
	v_lshlrev_b64 v[12:13], 2, v[12:13]
	s_mul_hi_u32 s3, s2, s3
	s_ashr_i32 s25, s28, 31
	v_lshlrev_b64 v[14:15], 2, v[14:15]
	s_add_i32 s27, s2, s3
.LBB2_4:                                ; =>This Inner Loop Header: Depth=1
	s_abs_i32 s2, s33
	s_ashr_i32 s3, s33, 31
	s_mul_hi_u32 s4, s2, s27
	s_xor_b32 s3, s3, s25
	s_mul_i32 s5, s4, s26
	s_add_i32 s6, s4, 1
	s_sub_i32 s2, s2, s5
	s_delay_alu instid0(SALU_CYCLE_1)
	s_sub_i32 s5, s2, s26
	s_cmp_ge_u32 s2, s26
	s_cselect_b32 s4, s6, s4
	s_cselect_b32 s2, s5, s2
	s_add_i32 s5, s4, 1
	s_cmp_ge_u32 s2, s26
	s_cselect_b32 s2, s5, s4
	s_delay_alu instid0(SALU_CYCLE_1) | instskip(NEXT) | instid1(SALU_CYCLE_1)
	s_xor_b32 s2, s2, s3
	s_sub_i32 s41, s2, s3
	s_delay_alu instid0(SALU_CYCLE_1)
	s_ashr_i32 s42, s41, 31
	s_mul_i32 s3, s30, s41
	s_mul_hi_u32 s4, s20, s41
	s_mul_i32 s6, s20, s42
	s_mul_i32 s5, s21, s41
	s_add_i32 s40, s33, s3
	s_add_i32 s3, s4, s6
	s_mul_i32 s2, s20, s41
	s_add_i32 s3, s3, s5
	s_mul_hi_u32 s6, s22, s40
	s_lshl_b64 s[2:3], s[2:3], 2
	s_mul_i32 s7, s23, s40
	s_add_u32 s8, s18, s2
	s_addc_u32 s9, s19, s3
	s_ashr_i32 s43, s40, 31
	s_mul_i32 s4, s22, s40
	s_mul_i32 s2, s22, s43
	s_delay_alu instid0(SALU_CYCLE_1) | instskip(NEXT) | instid1(SALU_CYCLE_1)
	s_add_i32 s2, s6, s2
	s_add_i32 s5, s2, s7
	s_delay_alu instid0(SALU_CYCLE_1) | instskip(NEXT) | instid1(SALU_CYCLE_1)
	s_lshl_b64 s[2:3], s[4:5], 2
	s_add_u32 s4, s8, s2
	s_addc_u32 s5, s9, s3
	v_add_co_u32 v31, vcc_lo, s4, v10
	v_add_co_u32 v33, s2, s4, v12
	v_add_co_u32 v35, s3, s4, v14
	;; [unrolled: 1-line block ×3, first 2 shown]
	s_delay_alu instid0(VALU_DEP_1)
	v_add_co_ci_u32_e64 v39, s4, s5, v1, s4
	v_add_co_ci_u32_e32 v43, vcc_lo, s5, v11, vcc_lo
	v_add_co_ci_u32_e64 v51, vcc_lo, s5, v13, s2
	v_add_co_ci_u32_e64 v61, vcc_lo, s5, v15, s3
	v_add_co_u32 v30, vcc_lo, v37, v4
	v_add_co_u32 v59, s17, v37, v2
	v_add_co_u32 v32, s2, v37, v6
	;; [unrolled: 1-line block ×7, first 2 shown]
	v_add_co_ci_u32_e32 v31, vcc_lo, v39, v5, vcc_lo
	v_add_co_ci_u32_e64 v60, s17, v39, v3, s17
	v_add_co_u32 v44, s8, v33, v2
	v_add_co_u32 v46, s9, v33, v4
	v_add_co_u32 v48, s10, v33, v6
	v_add_co_u32 v50, s11, v33, v8
	v_add_co_u32 v52, s12, v35, v2
	v_add_co_u32 v54, s13, v35, v4
	v_add_co_u32 v56, s14, v35, v6
	v_add_co_u32 v58, s16, v35, v8
	v_add_co_ci_u32_e64 v33, vcc_lo, v39, v7, s2
	v_add_co_ci_u32_e64 v35, vcc_lo, v39, v9, s3
	;; [unrolled: 1-line block ×4, first 2 shown]
	s_clause 0x5
	global_load_b32 v30, v[30:31], off
	global_load_b32 v31, v[59:60], off
	;; [unrolled: 1-line block ×6, first 2 shown]
	v_add_co_ci_u32_e64 v47, vcc_lo, v51, v5, s9
	v_add_co_ci_u32_e64 v45, vcc_lo, v51, v3, s8
	v_add_co_ci_u32_e64 v55, vcc_lo, v61, v5, s13
	v_add_co_ci_u32_e64 v41, vcc_lo, v43, v7, s6
	v_add_co_ci_u32_e64 v49, vcc_lo, v51, v7, s10
	v_add_co_ci_u32_e64 v51, vcc_lo, v51, v9, s11
	v_add_co_ci_u32_e64 v53, vcc_lo, v61, v3, s12
	s_clause 0x6
	global_load_b32 v35, v[46:47], off
	global_load_b32 v36, v[44:45], off
	;; [unrolled: 1-line block ×7, first 2 shown]
	v_add_co_ci_u32_e64 v43, vcc_lo, v43, v9, s7
	v_add_co_ci_u32_e64 v57, vcc_lo, v61, v7, s14
	;; [unrolled: 1-line block ×3, first 2 shown]
	s_clause 0x2
	global_load_b32 v42, v[42:43], off
	global_load_b32 v43, v[56:57], off
	global_load_b32 v45, v[58:59], off
	s_mul_hi_u32 s3, s36, s41
	s_mul_i32 s6, s36, s42
	s_mul_i32 s5, s37, s41
	s_add_i32 s3, s3, s6
	s_mul_i32 s2, s36, s41
	s_add_i32 s3, s3, s5
	s_mul_hi_u32 s7, s38, s40
	s_lshl_b64 s[2:3], s[2:3], 2
	s_mul_i32 s9, s38, s43
	s_add_u32 s6, s44, s2
	s_mul_i32 s8, s39, s40
	s_addc_u32 s10, s45, s3
	s_add_i32 s2, s7, s9
	s_mul_i32 s4, s38, s40
	s_add_i32 s5, s2, s8
	s_delay_alu instid0(SALU_CYCLE_1) | instskip(NEXT) | instid1(SALU_CYCLE_1)
	s_lshl_b64 s[2:3], s[4:5], 2
	s_add_u32 s2, s6, s2
	s_addc_u32 s3, s10, s3
	s_waitcnt lgkmcnt(0)
	s_add_i32 s33, s33, s24
	s_delay_alu instid0(SALU_CYCLE_1) | instskip(SKIP_3) | instid1(VALU_DEP_1)
	s_cmp_lt_i32 s33, s29
	s_waitcnt vmcnt(15)
	v_mul_f32_e32 v30, v23, v30
	s_waitcnt vmcnt(14)
	v_fmac_f32_e32 v30, v22, v31
	s_waitcnt vmcnt(9)
	v_mul_f32_e32 v31, v23, v35
	s_waitcnt vmcnt(8)
	s_delay_alu instid0(VALU_DEP_1) | instskip(SKIP_1) | instid1(VALU_DEP_1)
	v_dual_fmac_f32 v31, v22, v36 :: v_dual_mul_f32 v38, v23, v38
	s_waitcnt vmcnt(5)
	v_dual_fmac_f32 v31, v24, v40 :: v_dual_fmac_f32 v38, v22, v34
	s_waitcnt vmcnt(4)
	s_delay_alu instid0(VALU_DEP_1) | instskip(SKIP_1) | instid1(VALU_DEP_1)
	v_dual_fmac_f32 v31, v25, v41 :: v_dual_fmac_f32 v38, v24, v39
	s_waitcnt vmcnt(2)
	v_fmac_f32_e32 v38, v25, v42
	v_fmac_f32_e32 v30, v24, v32
	s_delay_alu instid0(VALU_DEP_1) | instskip(NEXT) | instid1(VALU_DEP_1)
	v_fmac_f32_e32 v30, v25, v33
	v_dual_mul_f32 v32, v23, v37 :: v_dual_mul_f32 v33, v26, v30
	s_delay_alu instid0(VALU_DEP_1) | instskip(SKIP_3) | instid1(VALU_DEP_3)
	v_fmac_f32_e32 v32, v22, v44
	v_add_co_u32 v30, vcc_lo, s2, v16
	v_add_co_ci_u32_e32 v34, vcc_lo, s3, v17, vcc_lo
	s_waitcnt vmcnt(1)
	v_dual_fmac_f32 v32, v24, v43 :: v_dual_fmac_f32 v33, v27, v38
	s_delay_alu instid0(VALU_DEP_3) | instskip(SKIP_1) | instid1(VALU_DEP_2)
	v_add_co_u32 v30, vcc_lo, v30, v18
	s_waitcnt vmcnt(0)
	v_dual_fmac_f32 v32, v25, v45 :: v_dual_fmac_f32 v33, v28, v31
	v_add_co_ci_u32_e32 v31, vcc_lo, v34, v19, vcc_lo
	s_delay_alu instid0(VALU_DEP_2)
	v_fmac_f32_e32 v33, v29, v32
	global_store_b32 v[30:31], v33, off
	s_cbranch_scc1 .LBB2_4
.LBB2_5:
	s_mov_b32 s4, 0
.LBB2_6:
	s_delay_alu instid0(SALU_CYCLE_1)
	s_and_not1_b32 vcc_lo, exec_lo, s4
	s_cbranch_vccnz .LBB2_10
; %bb.7:
	s_and_not1_b32 vcc_lo, exec_lo, s31
	s_cbranch_vccnz .LBB2_10
; %bb.8:
	s_abs_i32 s12, s28
	s_load_b256 s[4:11], s[0:1], 0x38
	v_cvt_f32_u32_e32 v0, s12
	s_load_b256 s[16:23], s[0:1], 0x80
	v_ashrrev_i32_e32 v4, 31, v20
	v_ashrrev_i32_e32 v6, 31, v21
	s_load_b64 s[2:3], s[0:1], 0x10
	v_rcp_iflag_f32_e32 v0, v0
	s_load_b64 s[0:1], s[0:1], 0x58
	s_waitcnt_depctr 0xfff
	v_mul_f32_e32 v7, 0x4f7ffffe, v0
	s_waitcnt lgkmcnt(0)
	v_mul_lo_u32 v9, s8, v4
	v_mad_u64_u32 v[0:1], null, s8, v20, 0
	s_load_b32 s8, s[34:35], 0x8
	v_mul_lo_u32 v8, s9, v20
	v_mul_lo_u32 v10, s11, v21
	v_mul_lo_u32 v11, s10, v6
	v_mad_u64_u32 v[2:3], null, s10, v21, 0
	v_mul_lo_u32 v12, s21, v20
	v_mul_lo_u32 v13, s20, v4
	v_mad_u64_u32 v[4:5], null, s20, v20, 0
	v_mul_lo_u32 v14, s23, v21
	v_mul_lo_u32 v15, s22, v6
	v_cvt_u32_f32_e32 v16, v7
	v_mad_u64_u32 v[6:7], null, s22, v21, 0
	v_add3_u32 v1, v1, v9, v8
	v_add3_u32 v3, v3, v11, v10
	s_delay_alu instid0(VALU_DEP_4)
	v_readfirstlane_b32 s10, v16
	v_add3_u32 v5, v5, v13, v12
	s_sub_i32 s9, 0, s12
	v_lshlrev_b64 v[0:1], 2, v[0:1]
	v_add3_u32 v7, v7, v15, v14
	s_mul_i32 s9, s9, s10
	v_lshlrev_b64 v[2:3], 2, v[2:3]
	v_lshlrev_b64 v[4:5], 2, v[4:5]
	s_mul_hi_u32 s11, s10, s9
	v_lshlrev_b64 v[6:7], 2, v[6:7]
	s_ashr_i32 s9, s28, 31
	s_add_i32 s10, s10, s11
	s_sub_i32 s11, 0, s28
.LBB2_9:                                ; =>This Inner Loop Header: Depth=1
	s_abs_i32 s13, s15
	s_ashr_i32 s14, s15, 31
	s_mul_hi_u32 s20, s13, s10
	s_xor_b32 s14, s14, s9
	s_mul_i32 s21, s20, s12
	s_add_i32 s22, s20, 1
	s_sub_i32 s13, s13, s21
	s_delay_alu instid0(SALU_CYCLE_1)
	s_sub_i32 s21, s13, s12
	s_cmp_ge_u32 s13, s12
	s_cselect_b32 s20, s22, s20
	s_cselect_b32 s13, s21, s13
	s_add_i32 s21, s20, 1
	s_cmp_ge_u32 s13, s12
	s_cselect_b32 s13, s21, s20
	s_delay_alu instid0(SALU_CYCLE_1) | instskip(NEXT) | instid1(SALU_CYCLE_1)
	s_xor_b32 s13, s13, s14
	s_sub_i32 s13, s13, s14
	s_delay_alu instid0(SALU_CYCLE_1)
	s_ashr_i32 s24, s13, 31
	s_mul_hi_u32 s21, s4, s13
	s_mul_i32 s22, s4, s24
	s_mul_i32 s23, s5, s13
	s_add_i32 s21, s21, s22
	s_mul_i32 s20, s4, s13
	s_add_i32 s21, s21, s23
	s_mul_i32 s14, s11, s13
	s_lshl_b64 s[20:21], s[20:21], 2
	s_add_i32 s14, s15, s14
	s_add_u32 s27, s2, s20
	s_addc_u32 s28, s3, s21
	s_ashr_i32 s30, s14, 31
	s_mul_hi_u32 s25, s6, s14
	s_mul_i32 s20, s6, s30
	s_mul_i32 s26, s7, s14
	s_add_i32 s20, s25, s20
	s_mul_i32 s22, s6, s14
	s_add_i32 s23, s20, s26
	s_mul_i32 s25, s19, s14
	s_lshl_b64 s[20:21], s[22:23], 2
	s_mul_i32 s23, s17, s13
	s_add_u32 s20, s27, s20
	s_addc_u32 s21, s28, s21
	v_add_co_u32 v8, vcc_lo, s20, v0
	v_add_co_ci_u32_e32 v9, vcc_lo, s21, v1, vcc_lo
	s_mul_hi_u32 s21, s16, s13
	s_delay_alu instid0(VALU_DEP_2) | instskip(NEXT) | instid1(VALU_DEP_2)
	v_add_co_u32 v8, vcc_lo, v8, v2
	v_add_co_ci_u32_e32 v9, vcc_lo, v9, v3, vcc_lo
	s_mul_i32 s20, s16, s13
	s_mul_i32 s13, s16, s24
	s_mul_hi_u32 s24, s18, s14
	global_load_b32 v10, v[8:9], off
	s_add_i32 s13, s21, s13
	s_mul_i32 s22, s18, s14
	s_add_i32 s21, s13, s23
	s_mul_i32 s14, s18, s30
	s_lshl_b64 s[20:21], s[20:21], 2
	s_delay_alu instid0(SALU_CYCLE_1) | instskip(SKIP_2) | instid1(SALU_CYCLE_1)
	s_add_u32 s13, s0, s20
	s_addc_u32 s26, s1, s21
	s_add_i32 s14, s24, s14
	s_add_i32 s23, s14, s25
	s_delay_alu instid0(SALU_CYCLE_1) | instskip(NEXT) | instid1(SALU_CYCLE_1)
	s_lshl_b64 s[20:21], s[22:23], 2
	s_add_u32 s13, s13, s20
	s_addc_u32 s14, s26, s21
	v_add_co_u32 v8, vcc_lo, s13, v4
	v_add_co_ci_u32_e32 v9, vcc_lo, s14, v5, vcc_lo
	s_waitcnt lgkmcnt(0)
	s_add_i32 s15, s15, s8
	s_delay_alu instid0(VALU_DEP_2) | instskip(NEXT) | instid1(VALU_DEP_2)
	v_add_co_u32 v8, vcc_lo, v8, v6
	v_add_co_ci_u32_e32 v9, vcc_lo, v9, v7, vcc_lo
	s_cmp_ge_i32 s15, s29
	s_waitcnt vmcnt(0)
	global_store_b32 v[8:9], v10, off
	s_cbranch_scc0 .LBB2_9
.LBB2_10:
	s_nop 0
	s_sendmsg sendmsg(MSG_DEALLOC_VGPRS)
	s_endpgm
	.section	.rodata,"a",@progbits
	.p2align	6, 0x0
	.amdhsa_kernel _ZN2at6native12_GLOBAL__N_137upsample_bicubic2d_out_frame_parallelIffEEviT0_S3_bN5torch10headeronly6detail27GenericPackedTensorAccessorINS6_14TensorAccessorIN3c108ArrayRefIlEEKT_Lm3ENS5_16DefaultPtrTraitsElEENS_6detail16IndexBoundsCheckILm4ElEESD_Lm4ESE_lEENS7_INS8_ISB_SC_Lm3ESE_lEESI_SC_Lm4ESE_lEE
		.amdhsa_group_segment_fixed_size 0
		.amdhsa_private_segment_fixed_size 0
		.amdhsa_kernarg_size 416
		.amdhsa_user_sgpr_count 14
		.amdhsa_user_sgpr_dispatch_ptr 0
		.amdhsa_user_sgpr_queue_ptr 0
		.amdhsa_user_sgpr_kernarg_segment_ptr 1
		.amdhsa_user_sgpr_dispatch_id 0
		.amdhsa_user_sgpr_private_segment_size 0
		.amdhsa_wavefront_size32 1
		.amdhsa_uses_dynamic_stack 0
		.amdhsa_enable_private_segment 0
		.amdhsa_system_sgpr_workgroup_id_x 1
		.amdhsa_system_sgpr_workgroup_id_y 0
		.amdhsa_system_sgpr_workgroup_id_z 1
		.amdhsa_system_sgpr_workgroup_info 0
		.amdhsa_system_vgpr_workitem_id 0
		.amdhsa_next_free_vgpr 62
		.amdhsa_next_free_sgpr 46
		.amdhsa_reserve_vcc 1
		.amdhsa_float_round_mode_32 0
		.amdhsa_float_round_mode_16_64 0
		.amdhsa_float_denorm_mode_32 3
		.amdhsa_float_denorm_mode_16_64 3
		.amdhsa_dx10_clamp 1
		.amdhsa_ieee_mode 1
		.amdhsa_fp16_overflow 0
		.amdhsa_workgroup_processor_mode 1
		.amdhsa_memory_ordered 1
		.amdhsa_forward_progress 0
		.amdhsa_shared_vgpr_count 0
		.amdhsa_exception_fp_ieee_invalid_op 0
		.amdhsa_exception_fp_denorm_src 0
		.amdhsa_exception_fp_ieee_div_zero 0
		.amdhsa_exception_fp_ieee_overflow 0
		.amdhsa_exception_fp_ieee_underflow 0
		.amdhsa_exception_fp_ieee_inexact 0
		.amdhsa_exception_int_div_zero 0
	.end_amdhsa_kernel
	.section	.text._ZN2at6native12_GLOBAL__N_137upsample_bicubic2d_out_frame_parallelIffEEviT0_S3_bN5torch10headeronly6detail27GenericPackedTensorAccessorINS6_14TensorAccessorIN3c108ArrayRefIlEEKT_Lm3ENS5_16DefaultPtrTraitsElEENS_6detail16IndexBoundsCheckILm4ElEESD_Lm4ESE_lEENS7_INS8_ISB_SC_Lm3ESE_lEESI_SC_Lm4ESE_lEE,"axG",@progbits,_ZN2at6native12_GLOBAL__N_137upsample_bicubic2d_out_frame_parallelIffEEviT0_S3_bN5torch10headeronly6detail27GenericPackedTensorAccessorINS6_14TensorAccessorIN3c108ArrayRefIlEEKT_Lm3ENS5_16DefaultPtrTraitsElEENS_6detail16IndexBoundsCheckILm4ElEESD_Lm4ESE_lEENS7_INS8_ISB_SC_Lm3ESE_lEESI_SC_Lm4ESE_lEE,comdat
.Lfunc_end2:
	.size	_ZN2at6native12_GLOBAL__N_137upsample_bicubic2d_out_frame_parallelIffEEviT0_S3_bN5torch10headeronly6detail27GenericPackedTensorAccessorINS6_14TensorAccessorIN3c108ArrayRefIlEEKT_Lm3ENS5_16DefaultPtrTraitsElEENS_6detail16IndexBoundsCheckILm4ElEESD_Lm4ESE_lEENS7_INS8_ISB_SC_Lm3ESE_lEESI_SC_Lm4ESE_lEE, .Lfunc_end2-_ZN2at6native12_GLOBAL__N_137upsample_bicubic2d_out_frame_parallelIffEEviT0_S3_bN5torch10headeronly6detail27GenericPackedTensorAccessorINS6_14TensorAccessorIN3c108ArrayRefIlEEKT_Lm3ENS5_16DefaultPtrTraitsElEENS_6detail16IndexBoundsCheckILm4ElEESD_Lm4ESE_lEENS7_INS8_ISB_SC_Lm3ESE_lEESI_SC_Lm4ESE_lEE
                                        ; -- End function
	.section	.AMDGPU.csdata,"",@progbits
; Kernel info:
; codeLenInByte = 2824
; NumSgprs: 48
; NumVgprs: 62
; ScratchSize: 0
; MemoryBound: 0
; FloatMode: 240
; IeeeMode: 1
; LDSByteSize: 0 bytes/workgroup (compile time only)
; SGPRBlocks: 5
; VGPRBlocks: 7
; NumSGPRsForWavesPerEU: 48
; NumVGPRsForWavesPerEU: 62
; Occupancy: 16
; WaveLimiterHint : 1
; COMPUTE_PGM_RSRC2:SCRATCH_EN: 0
; COMPUTE_PGM_RSRC2:USER_SGPR: 14
; COMPUTE_PGM_RSRC2:TRAP_HANDLER: 0
; COMPUTE_PGM_RSRC2:TGID_X_EN: 1
; COMPUTE_PGM_RSRC2:TGID_Y_EN: 0
; COMPUTE_PGM_RSRC2:TGID_Z_EN: 1
; COMPUTE_PGM_RSRC2:TIDIG_COMP_CNT: 0
	.section	.text._ZN2at6native12_GLOBAL__N_128upsample_bicubic2d_out_frameIffEEviT0_S3_bN5torch10headeronly6detail27GenericPackedTensorAccessorINS6_14TensorAccessorIN3c108ArrayRefIlEEKT_Lm3ENS5_16DefaultPtrTraitsElEENS_6detail16IndexBoundsCheckILm4ElEESD_Lm4ESE_lEENS7_INS8_ISB_SC_Lm3ESE_lEESI_SC_Lm4ESE_lEE,"axG",@progbits,_ZN2at6native12_GLOBAL__N_128upsample_bicubic2d_out_frameIffEEviT0_S3_bN5torch10headeronly6detail27GenericPackedTensorAccessorINS6_14TensorAccessorIN3c108ArrayRefIlEEKT_Lm3ENS5_16DefaultPtrTraitsElEENS_6detail16IndexBoundsCheckILm4ElEESD_Lm4ESE_lEENS7_INS8_ISB_SC_Lm3ESE_lEESI_SC_Lm4ESE_lEE,comdat
	.globl	_ZN2at6native12_GLOBAL__N_128upsample_bicubic2d_out_frameIffEEviT0_S3_bN5torch10headeronly6detail27GenericPackedTensorAccessorINS6_14TensorAccessorIN3c108ArrayRefIlEEKT_Lm3ENS5_16DefaultPtrTraitsElEENS_6detail16IndexBoundsCheckILm4ElEESD_Lm4ESE_lEENS7_INS8_ISB_SC_Lm3ESE_lEESI_SC_Lm4ESE_lEE ; -- Begin function _ZN2at6native12_GLOBAL__N_128upsample_bicubic2d_out_frameIffEEviT0_S3_bN5torch10headeronly6detail27GenericPackedTensorAccessorINS6_14TensorAccessorIN3c108ArrayRefIlEEKT_Lm3ENS5_16DefaultPtrTraitsElEENS_6detail16IndexBoundsCheckILm4ElEESD_Lm4ESE_lEENS7_INS8_ISB_SC_Lm3ESE_lEESI_SC_Lm4ESE_lEE
	.p2align	8
	.type	_ZN2at6native12_GLOBAL__N_128upsample_bicubic2d_out_frameIffEEviT0_S3_bN5torch10headeronly6detail27GenericPackedTensorAccessorINS6_14TensorAccessorIN3c108ArrayRefIlEEKT_Lm3ENS5_16DefaultPtrTraitsElEENS_6detail16IndexBoundsCheckILm4ElEESD_Lm4ESE_lEENS7_INS8_ISB_SC_Lm3ESE_lEESI_SC_Lm4ESE_lEE,@function
_ZN2at6native12_GLOBAL__N_128upsample_bicubic2d_out_frameIffEEviT0_S3_bN5torch10headeronly6detail27GenericPackedTensorAccessorINS6_14TensorAccessorIN3c108ArrayRefIlEEKT_Lm3ENS5_16DefaultPtrTraitsElEENS_6detail16IndexBoundsCheckILm4ElEESD_Lm4ESE_lEENS7_INS8_ISB_SC_Lm3ESE_lEESI_SC_Lm4ESE_lEE: ; @_ZN2at6native12_GLOBAL__N_128upsample_bicubic2d_out_frameIffEEviT0_S3_bN5torch10headeronly6detail27GenericPackedTensorAccessorINS6_14TensorAccessorIN3c108ArrayRefIlEEKT_Lm3ENS5_16DefaultPtrTraitsElEENS_6detail16IndexBoundsCheckILm4ElEESD_Lm4ESE_lEENS7_INS8_ISB_SC_Lm3ESE_lEESI_SC_Lm4ESE_lEE
; %bb.0:
	s_clause 0x1
	s_load_b32 s2, s[0:1], 0xac
	s_load_b128 s[16:19], s[0:1], 0x0
	s_waitcnt lgkmcnt(0)
	s_and_b32 s2, s2, 0xffff
	s_delay_alu instid0(SALU_CYCLE_1) | instskip(SKIP_1) | instid1(VALU_DEP_1)
	v_mad_u64_u32 v[1:2], null, s15, s2, v[0:1]
	s_mov_b32 s2, exec_lo
	v_cmpx_gt_i32_e64 s16, v1
	s_cbranch_execz .LBB3_14
; %bb.1:
	s_load_b128 s[12:15], s[0:1], 0x70
	v_sub_nc_u32_e32 v3, 0, v1
	s_load_b256 s[4:11], s[0:1], 0x18
	s_delay_alu instid0(VALU_DEP_1) | instskip(SKIP_2) | instid1(SALU_CYCLE_1)
	v_max_i32_e32 v3, v1, v3
	s_waitcnt lgkmcnt(0)
	s_abs_i32 s2, s14
	v_cvt_f32_u32_e32 v0, s2
	s_sub_i32 s3, 0, s2
	s_cmp_lg_u32 s8, s12
	s_delay_alu instid0(VALU_DEP_1) | instskip(SKIP_2) | instid1(VALU_DEP_1)
	v_rcp_iflag_f32_e32 v0, v0
	s_waitcnt_depctr 0xfff
	v_mul_f32_e32 v0, 0x4f7ffffe, v0
	v_cvt_u32_f32_e32 v0, v0
	s_delay_alu instid0(VALU_DEP_1) | instskip(NEXT) | instid1(VALU_DEP_1)
	v_mul_lo_u32 v2, s3, v0
	v_mul_hi_u32 v2, v0, v2
	s_delay_alu instid0(VALU_DEP_1) | instskip(NEXT) | instid1(VALU_DEP_1)
	v_add_nc_u32_e32 v0, v0, v2
	v_mul_hi_u32 v0, v3, v0
	s_delay_alu instid0(VALU_DEP_1) | instskip(NEXT) | instid1(VALU_DEP_1)
	v_mul_lo_u32 v2, v0, s2
	v_sub_nc_u32_e32 v2, v3, v2
	v_add_nc_u32_e32 v3, 1, v0
	s_delay_alu instid0(VALU_DEP_2) | instskip(SKIP_1) | instid1(VALU_DEP_3)
	v_subrev_nc_u32_e32 v4, s2, v2
	v_cmp_le_u32_e32 vcc_lo, s2, v2
	v_cndmask_b32_e32 v0, v0, v3, vcc_lo
	s_delay_alu instid0(VALU_DEP_3) | instskip(SKIP_1) | instid1(VALU_DEP_3)
	v_cndmask_b32_e32 v2, v2, v4, vcc_lo
	v_xor_b32_e32 v3, s14, v1
	v_add_nc_u32_e32 v4, 1, v0
	s_delay_alu instid0(VALU_DEP_3) | instskip(NEXT) | instid1(VALU_DEP_3)
	v_cmp_le_u32_e32 vcc_lo, s2, v2
	v_ashrrev_i32_e32 v3, 31, v3
	s_cselect_b32 s2, -1, 0
	s_cmp_lg_u32 s10, s14
	v_cndmask_b32_e32 v0, v0, v4, vcc_lo
	s_cselect_b32 s3, -1, 0
	s_delay_alu instid0(SALU_CYCLE_1) | instskip(SKIP_1) | instid1(VALU_DEP_1)
	s_or_b32 s2, s3, s2
	s_cmp_gt_i32 s4, 0
	v_xor_b32_e32 v0, v0, v3
	s_cselect_b32 s5, -1, 0
	s_and_b32 vcc_lo, exec_lo, s2
	s_mov_b32 s2, -1
	s_delay_alu instid0(VALU_DEP_1) | instskip(NEXT) | instid1(VALU_DEP_1)
	v_sub_nc_u32_e32 v4, v0, v3
	v_mul_lo_u32 v0, v4, s14
	s_delay_alu instid0(VALU_DEP_1)
	v_sub_nc_u32_e32 v5, v1, v0
	s_cbranch_vccz .LBB3_8
; %bb.2:
	s_and_not1_b32 vcc_lo, exec_lo, s5
	s_cbranch_vccnz .LBB3_7
; %bb.3:
	v_cvt_f32_i32_e32 v0, v4
	v_cvt_f32_i32_e32 v1, v5
	s_bitcmp1_b32 s19, 0
	s_mov_b32 s11, 0x3fa00000
	s_cselect_b32 vcc_lo, -1, 0
	s_delay_alu instid0(VALU_DEP_1) | instskip(SKIP_2) | instid1(VALU_DEP_2)
	v_dual_add_f32 v2, 0.5, v0 :: v_dual_add_f32 v3, 0.5, v1
	v_dual_mul_f32 v0, s17, v0 :: v_dual_mul_f32 v1, s18, v1
	s_cmp_gt_i32 s6, 0
	v_fma_f32 v2, v2, s17, -0.5
	s_delay_alu instid0(VALU_DEP_3) | instskip(SKIP_3) | instid1(VALU_DEP_1)
	v_fma_f32 v3, v3, s18, -0.5
	s_cselect_b32 s30, -1, 0
	s_add_i32 s10, s10, -1
	s_mov_b32 s9, 0xbf400000
	v_dual_cndmask_b32 v0, v2, v0 :: v_dual_cndmask_b32 v1, v3, v1
	s_clause 0x2
	s_load_b256 s[20:27], s[0:1], 0x80
	s_load_b256 s[12:19], s[0:1], 0x38
	s_load_b64 s[28:29], s[0:1], 0x58
	s_add_i32 s8, s8, -1
	v_floor_f32_e32 v2, v0
	v_floor_f32_e32 v3, v1
	s_load_b64 s[2:3], s[0:1], 0x10
	s_mov_b32 s7, 0
	s_delay_alu instid0(VALU_DEP_2) | instskip(NEXT) | instid1(VALU_DEP_2)
	v_cvt_i32_f32_e32 v22, v2
	v_cvt_i32_f32_e32 v2, v3
	s_delay_alu instid0(VALU_DEP_2) | instskip(NEXT) | instid1(VALU_DEP_2)
	v_cvt_f32_i32_e32 v3, v22
	v_cvt_f32_i32_e32 v6, v2
	v_add_nc_u32_e32 v11, -1, v22
	v_minmax_i32 v23, v2, s10, 0
	s_delay_alu instid0(VALU_DEP_3)
	v_dual_sub_f32 v12, v0, v3 :: v_dual_sub_f32 v1, v1, v6
	s_waitcnt lgkmcnt(0)
	v_mul_lo_u32 v17, s25, v4
	v_minmax_i32 v25, v11, s8, 0
	s_lshl_b64 s[12:13], s[12:13], 2
	v_dual_add_f32 v10, 1.0, v12 :: v_dual_add_nc_u32 v7, -1, v2
	v_add_f32_e32 v0, 1.0, v1
	v_dual_sub_f32 v3, 1.0, v1 :: v_dual_add_nc_u32 v8, 1, v2
	v_add_nc_u32_e32 v2, 2, v2
	s_delay_alu instid0(VALU_DEP_4) | instskip(SKIP_1) | instid1(VALU_DEP_4)
	v_minmax_i32 v24, v7, s10, 0
	v_fmaak_f32 v16, s9, v10, 0x40700000
	v_minmax_i32 v26, v8, s10, 0
	v_fmaak_f32 v7, s11, v3, 0xc0100000
	v_minmax_i32 v28, v2, s10, 0
	v_dual_fmaak_f32 v2, s11, v1, 0xc0100000 :: v_dual_add_f32 v9, 1.0, v3
	v_fmaak_f32 v6, s9, v0, 0x40700000
	v_sub_f32_e32 v13, 1.0, v12
	s_lshl_b64 s[14:15], s[14:15], 2
	s_delay_alu instid0(VALU_DEP_3) | instskip(NEXT) | instid1(VALU_DEP_3)
	v_dual_mul_f32 v2, v1, v2 :: v_dual_fmaak_f32 v15, s9, v9, 0x40700000
	v_fmaak_f32 v8, v0, v6, 0xc0c00000
	v_mul_f32_e32 v14, v3, v7
	s_delay_alu instid0(VALU_DEP_3) | instskip(NEXT) | instid1(VALU_DEP_3)
	v_fma_f32 v6, v1, v2, 1.0
	v_fmaak_f32 v7, v0, v8, 0x40400000
	s_delay_alu instid0(VALU_DEP_3) | instskip(SKIP_4) | instid1(VALU_DEP_4)
	v_fma_f32 v8, v3, v14, 1.0
	v_fmaak_f32 v14, s11, v12, 0xc0100000
	v_dual_fmaak_f32 v2, v9, v15, 0xc0c00000 :: v_dual_fmaak_f32 v3, v10, v16, 0xc0c00000
	v_fmaak_f32 v15, s11, v13, 0xc0100000
	v_ashrrev_i32_e32 v0, 31, v4
	v_dual_mul_f32 v19, v12, v14 :: v_dual_add_f32 v16, 1.0, v13
	s_delay_alu instid0(VALU_DEP_4) | instskip(SKIP_1) | instid1(VALU_DEP_3)
	v_fmaak_f32 v9, v9, v2, 0x40400000
	s_lshl_b64 s[10:11], s[22:23], 2
	v_mul_lo_u32 v18, s24, v0
	v_mad_u64_u32 v[0:1], null, s24, v4, 0
	v_fmaak_f32 v2, s9, v16, 0x40700000
	v_mul_f32_e32 v20, v13, v15
	v_mad_u64_u32 v[14:15], null, s16, v25, 0
	v_fma_f32 v11, v12, v19, 1.0
	s_delay_alu instid0(VALU_DEP_4)
	v_fmaak_f32 v21, v16, v2, 0xc0c00000
	v_fmaak_f32 v10, v10, v3, 0x40400000
	v_ashrrev_i32_e32 v3, 31, v5
	v_add3_u32 v1, v1, v18, v17
	v_mul_lo_u32 v18, s27, v5
	v_fma_f32 v12, v13, v20, 1.0
	v_fmaak_f32 v13, v16, v21, 0x40400000
	v_mul_lo_u32 v27, s26, v3
	v_mad_u64_u32 v[2:3], null, s26, v5, 0
	v_lshlrev_b64 v[0:1], 2, v[0:1]
	v_mad_u64_u32 v[16:17], null, s18, v24, 0
	s_delay_alu instid0(VALU_DEP_3) | instskip(NEXT) | instid1(VALU_DEP_3)
	v_add3_u32 v3, v3, v27, v18
	v_add_co_u32 v27, vcc_lo, s28, v0
	s_delay_alu instid0(VALU_DEP_4) | instskip(NEXT) | instid1(VALU_DEP_3)
	v_add_co_ci_u32_e32 v29, vcc_lo, s29, v1, vcc_lo
	v_lshlrev_b64 v[0:1], 2, v[2:3]
	v_mov_b32_e32 v2, v17
	v_mad_u64_u32 v[17:18], null, s17, v25, v[15:16]
	v_mad_u64_u32 v[18:19], null, s18, v23, 0
	s_delay_alu instid0(VALU_DEP_3) | instskip(SKIP_2) | instid1(VALU_DEP_4)
	v_mad_u64_u32 v[20:21], null, s19, v24, v[2:3]
	v_add_co_u32 v0, vcc_lo, v27, v0
	v_add_co_ci_u32_e32 v1, vcc_lo, v29, v1, vcc_lo
	v_mov_b32_e32 v2, v19
	v_minmax_i32 v29, v22, s8, 0
	v_dual_mov_b32 v15, v17 :: v_dual_add_nc_u32 v24, 1, v22
	v_mov_b32_e32 v17, v20
	s_delay_alu instid0(VALU_DEP_4) | instskip(SKIP_1) | instid1(VALU_DEP_4)
	v_mad_u64_u32 v[19:20], null, s19, v23, v[2:3]
	v_mad_u64_u32 v[2:3], null, s18, v26, 0
	v_minmax_i32 v32, v24, s8, 0
	v_mad_u64_u32 v[24:25], null, s16, v29, 0
	v_lshlrev_b64 v[38:39], 2, v[16:17]
	v_mad_u64_u32 v[20:21], null, s18, v28, 0
	v_mad_u64_u32 v[16:17], null, s19, v26, v[3:4]
	v_lshlrev_b64 v[40:41], 2, v[18:19]
	v_mov_b32_e32 v17, v25
	s_delay_alu instid0(VALU_DEP_1) | instskip(NEXT) | instid1(VALU_DEP_4)
	v_mad_u64_u32 v[18:19], null, s17, v29, v[17:18]
	v_dual_mov_b32 v3, v16 :: v_dual_add_nc_u32 v22, 2, v22
	s_delay_alu instid0(VALU_DEP_2) | instskip(NEXT) | instid1(VALU_DEP_2)
	v_mov_b32_e32 v25, v18
	v_minmax_i32 v33, v22, s8, 0
	v_lshlrev_b64 v[22:23], 2, v[14:15]
	v_mov_b32_e32 v14, v21
	v_lshlrev_b64 v[2:3], 2, v[2:3]
	v_lshlrev_b64 v[30:31], 2, v[24:25]
	v_mad_u64_u32 v[36:37], null, s16, v33, 0
	s_delay_alu instid0(VALU_DEP_4) | instskip(SKIP_3) | instid1(VALU_DEP_4)
	v_mad_u64_u32 v[26:27], null, s19, v28, v[14:15]
	v_mad_u64_u32 v[28:29], null, s16, v32, 0
	v_add_co_u32 v14, vcc_lo, v22, v38
	v_add_co_ci_u32_e32 v15, vcc_lo, v23, v39, vcc_lo
	v_mov_b32_e32 v21, v26
	v_add_co_u32 v16, vcc_lo, v40, v22
	v_mov_b32_e32 v24, v29
	v_add_co_ci_u32_e32 v17, vcc_lo, v41, v23, vcc_lo
	s_delay_alu instid0(VALU_DEP_4) | instskip(SKIP_1) | instid1(VALU_DEP_4)
	v_lshlrev_b64 v[44:45], 2, v[20:21]
	v_add_co_u32 v18, vcc_lo, v22, v2
	v_mad_u64_u32 v[26:27], null, s17, v32, v[24:25]
	v_add_co_ci_u32_e32 v19, vcc_lo, v23, v3, vcc_lo
	s_delay_alu instid0(VALU_DEP_4)
	v_add_co_u32 v20, vcc_lo, v22, v44
	v_add_co_ci_u32_e32 v21, vcc_lo, v23, v45, vcc_lo
	v_add_co_u32 v22, vcc_lo, v30, v38
	v_dual_mov_b32 v32, v37 :: v_dual_mov_b32 v29, v26
	v_add_co_ci_u32_e32 v23, vcc_lo, v31, v39, vcc_lo
	v_add_co_u32 v24, vcc_lo, v30, v40
	v_add_co_ci_u32_e32 v25, vcc_lo, v31, v41, vcc_lo
	s_delay_alu instid0(VALU_DEP_4)
	v_mad_u64_u32 v[34:35], null, s17, v33, v[32:33]
	v_add_co_u32 v26, vcc_lo, v30, v2
	v_lshlrev_b64 v[42:43], 2, v[28:29]
	v_add_co_ci_u32_e32 v27, vcc_lo, v31, v3, vcc_lo
	v_add_co_u32 v28, vcc_lo, v30, v44
	v_mov_b32_e32 v37, v34
	v_add_co_ci_u32_e32 v29, vcc_lo, v31, v45, vcc_lo
	v_add_co_u32 v30, vcc_lo, v38, v42
	v_add_co_ci_u32_e32 v31, vcc_lo, v39, v43, vcc_lo
	v_add_co_u32 v32, vcc_lo, v40, v42
	;; [unrolled: 2-line block ×3, first 2 shown]
	v_lshlrev_b64 v[46:47], 2, v[36:37]
	v_add_co_ci_u32_e32 v35, vcc_lo, v43, v3, vcc_lo
	v_add_co_u32 v36, vcc_lo, v44, v42
	v_add_co_ci_u32_e32 v37, vcc_lo, v45, v43, vcc_lo
	s_delay_alu instid0(VALU_DEP_4)
	v_add_co_u32 v38, vcc_lo, v38, v46
	v_add_co_ci_u32_e32 v39, vcc_lo, v39, v47, vcc_lo
	v_add_co_u32 v40, vcc_lo, v40, v46
	v_add_co_ci_u32_e32 v41, vcc_lo, v41, v47, vcc_lo
	;; [unrolled: 2-line block ×4, first 2 shown]
	s_lshl_b64 s[8:9], s[20:21], 2
	s_branch .LBB3_5
.LBB3_4:                                ;   in Loop: Header=BB3_5 Depth=1
	v_add_co_u32 v0, vcc_lo, v0, s8
	s_add_i32 s7, s7, 1
	v_add_co_ci_u32_e32 v1, vcc_lo, s9, v1, vcc_lo
	s_add_u32 s2, s2, s12
	s_addc_u32 s3, s3, s13
	s_cmp_lg_u32 s7, s4
	s_cbranch_scc0 .LBB3_7
.LBB3_5:                                ; =>This Loop Header: Depth=1
                                        ;     Child Loop BB3_6 Depth 2
	v_dual_mov_b32 v3, v1 :: v_dual_mov_b32 v2, v0
	s_and_not1_b32 vcc_lo, exec_lo, s30
	s_mov_b64 s[16:17], s[2:3]
	s_mov_b32 s18, s6
	s_cbranch_vccnz .LBB3_4
.LBB3_6:                                ;   Parent Loop BB3_5 Depth=1
                                        ; =>  This Inner Loop Header: Depth=2
	v_add_co_u32 v46, vcc_lo, s16, v14
	v_add_co_ci_u32_e32 v47, vcc_lo, s17, v15, vcc_lo
	v_add_co_u32 v48, vcc_lo, s16, v16
	v_add_co_ci_u32_e32 v49, vcc_lo, s17, v17, vcc_lo
	;; [unrolled: 2-line block ×16, first 2 shown]
	s_clause 0xf
	global_load_b32 v48, v[48:49], off
	global_load_b32 v46, v[46:47], off
	;; [unrolled: 1-line block ×16, first 2 shown]
	s_add_i32 s18, s18, -1
	s_add_u32 s16, s16, s14
	s_addc_u32 s17, s17, s15
	s_cmp_lg_u32 s18, 0
	s_waitcnt vmcnt(11)
	v_mul_f32_e32 v56, v6, v56
	s_waitcnt vmcnt(6)
	s_delay_alu instid0(VALU_DEP_1) | instskip(NEXT) | instid1(VALU_DEP_1)
	v_dual_mul_f32 v49, v6, v49 :: v_dual_fmac_f32 v56, v7, v54
	v_dual_mul_f32 v48, v6, v48 :: v_dual_fmac_f32 v49, v7, v53
	s_delay_alu instid0(VALU_DEP_1) | instskip(NEXT) | instid1(VALU_DEP_1)
	v_dual_mul_f32 v47, v6, v47 :: v_dual_fmac_f32 v48, v7, v46
	v_dual_fmac_f32 v47, v7, v52 :: v_dual_fmac_f32 v48, v8, v50
	s_waitcnt vmcnt(4)
	s_delay_alu instid0(VALU_DEP_3) | instskip(NEXT) | instid1(VALU_DEP_2)
	v_fmac_f32_e32 v49, v8, v57
	v_fmac_f32_e32 v47, v8, v55
	s_waitcnt vmcnt(3)
	v_fmac_f32_e32 v56, v8, v58
	v_fmac_f32_e32 v48, v9, v51
	s_waitcnt vmcnt(2)
	v_fmac_f32_e32 v47, v9, v59
	s_waitcnt vmcnt(0)
	v_fmac_f32_e32 v56, v9, v61
	v_mul_f32_e32 v46, v10, v48
	s_delay_alu instid0(VALU_DEP_1) | instskip(NEXT) | instid1(VALU_DEP_1)
	v_dual_fmac_f32 v49, v9, v60 :: v_dual_fmac_f32 v46, v11, v47
	v_fmac_f32_e32 v46, v12, v49
	s_delay_alu instid0(VALU_DEP_1)
	v_fmac_f32_e32 v46, v13, v56
	global_store_b32 v[2:3], v46, off
	v_add_co_u32 v2, vcc_lo, v2, s10
	v_add_co_ci_u32_e32 v3, vcc_lo, s11, v3, vcc_lo
	s_cbranch_scc1 .LBB3_6
	s_branch .LBB3_4
.LBB3_7:
	s_mov_b32 s2, 0
.LBB3_8:
	s_delay_alu instid0(SALU_CYCLE_1)
	s_and_not1_b32 vcc_lo, exec_lo, s2
	s_cbranch_vccnz .LBB3_14
; %bb.9:
	s_and_not1_b32 vcc_lo, exec_lo, s5
	s_cbranch_vccnz .LBB3_14
; %bb.10:
	s_clause 0x1
	s_load_b256 s[8:15], s[0:1], 0x38
	s_load_b256 s[16:23], s[0:1], 0x80
	v_ashrrev_i32_e32 v6, 31, v4
	s_clause 0x1
	s_load_b64 s[2:3], s[0:1], 0x10
	s_load_b64 s[0:1], s[0:1], 0x58
	v_ashrrev_i32_e32 v8, 31, v5
	s_cmp_gt_i32 s6, 0
	s_mov_b32 s5, 0
	s_cselect_b32 s7, -1, 0
	s_waitcnt lgkmcnt(0)
	v_mul_lo_u32 v10, s13, v4
	v_mul_lo_u32 v11, s12, v6
	v_mad_u64_u32 v[0:1], null, s12, v4, 0
	v_mul_lo_u32 v14, s21, v4
	v_mul_lo_u32 v15, s20, v6
	v_mad_u64_u32 v[6:7], null, s20, v4, 0
	;; [unrolled: 3-line block ×4, first 2 shown]
	v_add3_u32 v1, v1, v11, v10
	v_add3_u32 v7, v7, v15, v14
	v_add3_u32 v3, v3, v13, v12
	s_lshl_b64 s[8:9], s[8:9], 2
	s_lshl_b64 s[10:11], s[10:11], 2
	v_lshlrev_b64 v[0:1], 2, v[0:1]
	v_add3_u32 v9, v9, v16, v4
	v_lshlrev_b64 v[4:5], 2, v[6:7]
	v_lshlrev_b64 v[2:3], 2, v[2:3]
	s_delay_alu instid0(VALU_DEP_4)
	v_add_co_u32 v0, vcc_lo, s2, v0
	v_add_co_ci_u32_e32 v1, vcc_lo, s3, v1, vcc_lo
	v_lshlrev_b64 v[6:7], 2, v[8:9]
	v_add_co_u32 v4, vcc_lo, s0, v4
	v_add_co_ci_u32_e32 v5, vcc_lo, s1, v5, vcc_lo
	v_add_co_u32 v0, vcc_lo, v0, v2
	v_add_co_ci_u32_e32 v1, vcc_lo, v1, v3, vcc_lo
	s_delay_alu instid0(VALU_DEP_4) | instskip(NEXT) | instid1(VALU_DEP_4)
	v_add_co_u32 v2, vcc_lo, v4, v6
	v_add_co_ci_u32_e32 v3, vcc_lo, v5, v7, vcc_lo
	s_lshl_b64 s[0:1], s[16:17], 2
	s_lshl_b64 s[2:3], s[18:19], 2
	s_set_inst_prefetch_distance 0x1
	s_branch .LBB3_12
	.p2align	6
.LBB3_11:                               ;   in Loop: Header=BB3_12 Depth=1
	v_add_co_u32 v2, vcc_lo, v2, s0
	v_add_co_ci_u32_e32 v3, vcc_lo, s1, v3, vcc_lo
	v_add_co_u32 v0, vcc_lo, v0, s8
	v_add_co_ci_u32_e32 v1, vcc_lo, s9, v1, vcc_lo
	s_add_i32 s5, s5, 1
	s_delay_alu instid0(SALU_CYCLE_1)
	s_cmp_eq_u32 s5, s4
	s_cbranch_scc1 .LBB3_14
.LBB3_12:                               ; =>This Loop Header: Depth=1
                                        ;     Child Loop BB3_13 Depth 2
	s_delay_alu instid0(VALU_DEP_1)
	v_dual_mov_b32 v5, v1 :: v_dual_mov_b32 v4, v0
	v_dual_mov_b32 v7, v3 :: v_dual_mov_b32 v6, v2
	s_and_not1_b32 vcc_lo, exec_lo, s7
	s_mov_b32 s12, s6
	s_cbranch_vccnz .LBB3_11
.LBB3_13:                               ;   Parent Loop BB3_12 Depth=1
                                        ; =>  This Inner Loop Header: Depth=2
	global_load_b32 v8, v[4:5], off
	v_add_co_u32 v4, vcc_lo, v4, s10
	v_add_co_ci_u32_e32 v5, vcc_lo, s11, v5, vcc_lo
	s_add_i32 s12, s12, -1
	s_delay_alu instid0(SALU_CYCLE_1)
	s_cmp_eq_u32 s12, 0
	s_waitcnt vmcnt(0)
	global_store_b32 v[6:7], v8, off
	v_add_co_u32 v6, vcc_lo, v6, s2
	v_add_co_ci_u32_e32 v7, vcc_lo, s3, v7, vcc_lo
	s_cbranch_scc0 .LBB3_13
	s_branch .LBB3_11
.LBB3_14:
	s_set_inst_prefetch_distance 0x2
	s_nop 0
	s_sendmsg sendmsg(MSG_DEALLOC_VGPRS)
	s_endpgm
	.section	.rodata,"a",@progbits
	.p2align	6, 0x0
	.amdhsa_kernel _ZN2at6native12_GLOBAL__N_128upsample_bicubic2d_out_frameIffEEviT0_S3_bN5torch10headeronly6detail27GenericPackedTensorAccessorINS6_14TensorAccessorIN3c108ArrayRefIlEEKT_Lm3ENS5_16DefaultPtrTraitsElEENS_6detail16IndexBoundsCheckILm4ElEESD_Lm4ESE_lEENS7_INS8_ISB_SC_Lm3ESE_lEESI_SC_Lm4ESE_lEE
		.amdhsa_group_segment_fixed_size 0
		.amdhsa_private_segment_fixed_size 0
		.amdhsa_kernarg_size 416
		.amdhsa_user_sgpr_count 15
		.amdhsa_user_sgpr_dispatch_ptr 0
		.amdhsa_user_sgpr_queue_ptr 0
		.amdhsa_user_sgpr_kernarg_segment_ptr 1
		.amdhsa_user_sgpr_dispatch_id 0
		.amdhsa_user_sgpr_private_segment_size 0
		.amdhsa_wavefront_size32 1
		.amdhsa_uses_dynamic_stack 0
		.amdhsa_enable_private_segment 0
		.amdhsa_system_sgpr_workgroup_id_x 1
		.amdhsa_system_sgpr_workgroup_id_y 0
		.amdhsa_system_sgpr_workgroup_id_z 0
		.amdhsa_system_sgpr_workgroup_info 0
		.amdhsa_system_vgpr_workitem_id 0
		.amdhsa_next_free_vgpr 78
		.amdhsa_next_free_sgpr 31
		.amdhsa_reserve_vcc 1
		.amdhsa_float_round_mode_32 0
		.amdhsa_float_round_mode_16_64 0
		.amdhsa_float_denorm_mode_32 3
		.amdhsa_float_denorm_mode_16_64 3
		.amdhsa_dx10_clamp 1
		.amdhsa_ieee_mode 1
		.amdhsa_fp16_overflow 0
		.amdhsa_workgroup_processor_mode 1
		.amdhsa_memory_ordered 1
		.amdhsa_forward_progress 0
		.amdhsa_shared_vgpr_count 0
		.amdhsa_exception_fp_ieee_invalid_op 0
		.amdhsa_exception_fp_denorm_src 0
		.amdhsa_exception_fp_ieee_div_zero 0
		.amdhsa_exception_fp_ieee_overflow 0
		.amdhsa_exception_fp_ieee_underflow 0
		.amdhsa_exception_fp_ieee_inexact 0
		.amdhsa_exception_int_div_zero 0
	.end_amdhsa_kernel
	.section	.text._ZN2at6native12_GLOBAL__N_128upsample_bicubic2d_out_frameIffEEviT0_S3_bN5torch10headeronly6detail27GenericPackedTensorAccessorINS6_14TensorAccessorIN3c108ArrayRefIlEEKT_Lm3ENS5_16DefaultPtrTraitsElEENS_6detail16IndexBoundsCheckILm4ElEESD_Lm4ESE_lEENS7_INS8_ISB_SC_Lm3ESE_lEESI_SC_Lm4ESE_lEE,"axG",@progbits,_ZN2at6native12_GLOBAL__N_128upsample_bicubic2d_out_frameIffEEviT0_S3_bN5torch10headeronly6detail27GenericPackedTensorAccessorINS6_14TensorAccessorIN3c108ArrayRefIlEEKT_Lm3ENS5_16DefaultPtrTraitsElEENS_6detail16IndexBoundsCheckILm4ElEESD_Lm4ESE_lEENS7_INS8_ISB_SC_Lm3ESE_lEESI_SC_Lm4ESE_lEE,comdat
.Lfunc_end3:
	.size	_ZN2at6native12_GLOBAL__N_128upsample_bicubic2d_out_frameIffEEviT0_S3_bN5torch10headeronly6detail27GenericPackedTensorAccessorINS6_14TensorAccessorIN3c108ArrayRefIlEEKT_Lm3ENS5_16DefaultPtrTraitsElEENS_6detail16IndexBoundsCheckILm4ElEESD_Lm4ESE_lEENS7_INS8_ISB_SC_Lm3ESE_lEESI_SC_Lm4ESE_lEE, .Lfunc_end3-_ZN2at6native12_GLOBAL__N_128upsample_bicubic2d_out_frameIffEEviT0_S3_bN5torch10headeronly6detail27GenericPackedTensorAccessorINS6_14TensorAccessorIN3c108ArrayRefIlEEKT_Lm3ENS5_16DefaultPtrTraitsElEENS_6detail16IndexBoundsCheckILm4ElEESD_Lm4ESE_lEENS7_INS8_ISB_SC_Lm3ESE_lEESI_SC_Lm4ESE_lEE
                                        ; -- End function
	.section	.AMDGPU.csdata,"",@progbits
; Kernel info:
; codeLenInByte = 2444
; NumSgprs: 33
; NumVgprs: 78
; ScratchSize: 0
; MemoryBound: 0
; FloatMode: 240
; IeeeMode: 1
; LDSByteSize: 0 bytes/workgroup (compile time only)
; SGPRBlocks: 4
; VGPRBlocks: 9
; NumSGPRsForWavesPerEU: 33
; NumVGPRsForWavesPerEU: 78
; Occupancy: 16
; WaveLimiterHint : 1
; COMPUTE_PGM_RSRC2:SCRATCH_EN: 0
; COMPUTE_PGM_RSRC2:USER_SGPR: 15
; COMPUTE_PGM_RSRC2:TRAP_HANDLER: 0
; COMPUTE_PGM_RSRC2:TGID_X_EN: 1
; COMPUTE_PGM_RSRC2:TGID_Y_EN: 0
; COMPUTE_PGM_RSRC2:TGID_Z_EN: 0
; COMPUTE_PGM_RSRC2:TIDIG_COMP_CNT: 0
	.section	.text._ZN2at6native12_GLOBAL__N_137upsample_bicubic2d_out_frame_parallelIN3c104HalfEfEEviT0_S5_bN5torch10headeronly6detail27GenericPackedTensorAccessorINS8_14TensorAccessorINS3_8ArrayRefIlEEKT_Lm3ENS7_16DefaultPtrTraitsElEENS_6detail16IndexBoundsCheckILm4ElEESE_Lm4ESF_lEENS9_INSA_ISC_SD_Lm3ESF_lEESJ_SD_Lm4ESF_lEE,"axG",@progbits,_ZN2at6native12_GLOBAL__N_137upsample_bicubic2d_out_frame_parallelIN3c104HalfEfEEviT0_S5_bN5torch10headeronly6detail27GenericPackedTensorAccessorINS8_14TensorAccessorINS3_8ArrayRefIlEEKT_Lm3ENS7_16DefaultPtrTraitsElEENS_6detail16IndexBoundsCheckILm4ElEESE_Lm4ESF_lEENS9_INSA_ISC_SD_Lm3ESF_lEESJ_SD_Lm4ESF_lEE,comdat
	.globl	_ZN2at6native12_GLOBAL__N_137upsample_bicubic2d_out_frame_parallelIN3c104HalfEfEEviT0_S5_bN5torch10headeronly6detail27GenericPackedTensorAccessorINS8_14TensorAccessorINS3_8ArrayRefIlEEKT_Lm3ENS7_16DefaultPtrTraitsElEENS_6detail16IndexBoundsCheckILm4ElEESE_Lm4ESF_lEENS9_INSA_ISC_SD_Lm3ESF_lEESJ_SD_Lm4ESF_lEE ; -- Begin function _ZN2at6native12_GLOBAL__N_137upsample_bicubic2d_out_frame_parallelIN3c104HalfEfEEviT0_S5_bN5torch10headeronly6detail27GenericPackedTensorAccessorINS8_14TensorAccessorINS3_8ArrayRefIlEEKT_Lm3ENS7_16DefaultPtrTraitsElEENS_6detail16IndexBoundsCheckILm4ElEESE_Lm4ESF_lEENS9_INSA_ISC_SD_Lm3ESF_lEESJ_SD_Lm4ESF_lEE
	.p2align	8
	.type	_ZN2at6native12_GLOBAL__N_137upsample_bicubic2d_out_frame_parallelIN3c104HalfEfEEviT0_S5_bN5torch10headeronly6detail27GenericPackedTensorAccessorINS8_14TensorAccessorINS3_8ArrayRefIlEEKT_Lm3ENS7_16DefaultPtrTraitsElEENS_6detail16IndexBoundsCheckILm4ElEESE_Lm4ESF_lEENS9_INSA_ISC_SD_Lm3ESF_lEESJ_SD_Lm4ESF_lEE,@function
_ZN2at6native12_GLOBAL__N_137upsample_bicubic2d_out_frame_parallelIN3c104HalfEfEEviT0_S5_bN5torch10headeronly6detail27GenericPackedTensorAccessorINS8_14TensorAccessorINS3_8ArrayRefIlEEKT_Lm3ENS7_16DefaultPtrTraitsElEENS_6detail16IndexBoundsCheckILm4ElEESE_Lm4ESF_lEENS9_INSA_ISC_SD_Lm3ESF_lEESJ_SD_Lm4ESF_lEE: ; @_ZN2at6native12_GLOBAL__N_137upsample_bicubic2d_out_frame_parallelIN3c104HalfEfEEviT0_S5_bN5torch10headeronly6detail27GenericPackedTensorAccessorINS8_14TensorAccessorINS3_8ArrayRefIlEEKT_Lm3ENS7_16DefaultPtrTraitsElEENS_6detail16IndexBoundsCheckILm4ElEESE_Lm4ESF_lEENS9_INSA_ISC_SD_Lm3ESF_lEESJ_SD_Lm4ESF_lEE
; %bb.0:
	s_clause 0x1
	s_load_b32 s2, s[0:1], 0xac
	s_load_b128 s[4:7], s[0:1], 0x0
	s_add_u32 s34, s0, 0xa0
	s_addc_u32 s35, s1, 0
	s_waitcnt lgkmcnt(0)
	s_and_b32 s2, s2, 0xffff
	s_delay_alu instid0(SALU_CYCLE_1) | instskip(SKIP_1) | instid1(VALU_DEP_1)
	v_mad_u64_u32 v[1:2], null, s14, s2, v[0:1]
	s_mov_b32 s2, exec_lo
	v_cmpx_gt_i32_e64 s4, v1
	s_cbranch_execz .LBB4_10
; %bb.1:
	s_clause 0x1
	s_load_b128 s[8:11], s[0:1], 0x70
	s_load_b32 s4, s[0:1], 0x18
	v_sub_nc_u32_e32 v3, 0, v1
	s_delay_alu instid0(VALU_DEP_1) | instskip(SKIP_2) | instid1(SALU_CYCLE_1)
	v_max_i32_e32 v3, v1, v3
	s_waitcnt lgkmcnt(0)
	s_abs_i32 s2, s10
	v_cvt_f32_u32_e32 v0, s2
	s_sub_i32 s3, 0, s2
	s_delay_alu instid0(VALU_DEP_1) | instskip(SKIP_2) | instid1(VALU_DEP_1)
	v_rcp_iflag_f32_e32 v0, v0
	s_waitcnt_depctr 0xfff
	v_mul_f32_e32 v0, 0x4f7ffffe, v0
	v_cvt_u32_f32_e32 v0, v0
	s_delay_alu instid0(VALU_DEP_1) | instskip(SKIP_3) | instid1(VALU_DEP_1)
	v_mul_lo_u32 v2, s3, v0
	s_clause 0x1
	s_load_b128 s[28:31], s[0:1], 0x20
	s_load_b32 s3, s[0:1], 0x30
	v_mul_hi_u32 v2, v0, v2
	s_delay_alu instid0(VALU_DEP_1) | instskip(SKIP_2) | instid1(VALU_DEP_1)
	v_add_nc_u32_e32 v0, v0, v2
	s_waitcnt lgkmcnt(0)
	s_cmp_lg_u32 s30, s8
	v_mul_hi_u32 v0, v3, v0
	s_mul_i32 s29, s28, s4
	s_mov_b32 s4, -1
	s_delay_alu instid0(VALU_DEP_1) | instskip(NEXT) | instid1(VALU_DEP_1)
	v_mul_lo_u32 v2, v0, s2
	v_sub_nc_u32_e32 v2, v3, v2
	v_add_nc_u32_e32 v3, 1, v0
	s_delay_alu instid0(VALU_DEP_2) | instskip(SKIP_1) | instid1(VALU_DEP_3)
	v_subrev_nc_u32_e32 v4, s2, v2
	v_cmp_le_u32_e32 vcc_lo, s2, v2
	v_cndmask_b32_e32 v0, v0, v3, vcc_lo
	s_delay_alu instid0(VALU_DEP_3) | instskip(SKIP_1) | instid1(VALU_DEP_3)
	v_cndmask_b32_e32 v2, v2, v4, vcc_lo
	v_xor_b32_e32 v3, s10, v1
	v_add_nc_u32_e32 v4, 1, v0
	s_delay_alu instid0(VALU_DEP_3) | instskip(NEXT) | instid1(VALU_DEP_3)
	v_cmp_le_u32_e32 vcc_lo, s2, v2
	v_ashrrev_i32_e32 v3, 31, v3
	s_cselect_b32 s2, -1, 0
	s_cmp_lg_u32 s3, s10
	v_cndmask_b32_e32 v0, v0, v4, vcc_lo
	s_cselect_b32 s8, -1, 0
	s_delay_alu instid0(SALU_CYCLE_1) | instskip(SKIP_1) | instid1(VALU_DEP_1)
	s_or_b32 s2, s8, s2
	s_cmp_lt_i32 s15, s29
	v_xor_b32_e32 v0, v0, v3
	s_cselect_b32 s31, -1, 0
	s_and_b32 vcc_lo, exec_lo, s2
	v_cndmask_b32_e64 v2, 0, 1, s31
	s_delay_alu instid0(VALU_DEP_2) | instskip(NEXT) | instid1(VALU_DEP_2)
	v_sub_nc_u32_e32 v20, v0, v3
	v_cmp_ne_u32_e64 s2, 1, v2
	s_delay_alu instid0(VALU_DEP_2) | instskip(NEXT) | instid1(VALU_DEP_1)
	v_mul_lo_u32 v0, v20, s10
	v_sub_nc_u32_e32 v21, v1, v0
	s_cbranch_vccz .LBB4_6
; %bb.2:
	s_delay_alu instid0(VALU_DEP_3)
	s_and_b32 vcc_lo, exec_lo, s2
	s_cbranch_vccnz .LBB4_5
; %bb.3:
	v_cvt_f32_i32_e32 v0, v20
	v_cvt_f32_i32_e32 v1, v21
	s_bitcmp1_b32 s7, 0
	s_load_b256 s[20:27], s[0:1], 0x38
	s_cselect_b32 vcc_lo, -1, 0
	s_delay_alu instid0(VALU_DEP_1) | instskip(SKIP_2) | instid1(VALU_DEP_2)
	v_dual_add_f32 v2, 0.5, v0 :: v_dual_add_f32 v3, 0.5, v1
	v_dual_mul_f32 v0, s5, v0 :: v_dual_mul_f32 v1, s6, v1
	s_add_i32 s3, s3, -1
	v_fma_f32 v2, v2, s5, -0.5
	s_delay_alu instid0(VALU_DEP_3)
	v_fma_f32 v3, v3, s6, -0.5
	s_mov_b32 s2, 0xbf400000
	s_mov_b32 s4, 0x3fa00000
	s_load_b256 s[36:43], s[0:1], 0x80
	v_cndmask_b32_e32 v14, v2, v0, vcc_lo
	v_cndmask_b32_e32 v0, v3, v1, vcc_lo
	s_add_i32 s5, s30, -1
	s_clause 0x1
	s_load_b64 s[18:19], s[0:1], 0x10
	s_load_b64 s[44:45], s[0:1], 0x58
	s_sub_i32 s30, 0, s28
	s_mov_b32 s33, s15
	v_floor_f32_e32 v1, v0
	s_delay_alu instid0(VALU_DEP_1) | instskip(NEXT) | instid1(VALU_DEP_1)
	v_cvt_i32_f32_e32 v1, v1
	v_add_nc_u32_e32 v3, -1, v1
	v_floor_f32_e32 v2, v14
	v_minmax_i32 v12, v1, s3, 0
	s_waitcnt lgkmcnt(0)
	v_mul_lo_u32 v32, s43, v21
	v_mul_lo_u32 v30, s41, v20
	v_minmax_i32 v13, v3, s3, 0
	v_cvt_i32_f32_e32 v15, v2
	v_cvt_f32_i32_e32 v2, v1
	v_mad_u64_u32 v[4:5], null, s26, v12, 0
	s_delay_alu instid0(VALU_DEP_2) | instskip(SKIP_2) | instid1(VALU_DEP_4)
	v_sub_f32_e32 v16, v0, v2
	v_mad_u64_u32 v[2:3], null, s26, v13, 0
	v_add_nc_u32_e32 v6, 1, v1
	v_dual_mov_b32 v0, v5 :: v_dual_add_nc_u32 v1, 2, v1
	v_cvt_f32_i32_e32 v5, v15
	s_delay_alu instid0(VALU_DEP_2) | instskip(SKIP_2) | instid1(VALU_DEP_3)
	v_minmax_i32 v18, v1, s3, 0
	v_mov_b32_e32 v1, v3
	v_minmax_i32 v17, v6, s3, 0
	v_mad_u64_u32 v[8:9], null, s26, v18, 0
	s_delay_alu instid0(VALU_DEP_2) | instskip(NEXT) | instid1(VALU_DEP_4)
	v_mad_u64_u32 v[6:7], null, s26, v17, 0
	v_mad_u64_u32 v[10:11], null, s27, v12, v[0:1]
	;; [unrolled: 1-line block ×3, first 2 shown]
	s_delay_alu instid0(VALU_DEP_4) | instskip(NEXT) | instid1(VALU_DEP_4)
	v_mov_b32_e32 v3, v9
	v_dual_add_f32 v19, 1.0, v16 :: v_dual_mov_b32 v0, v7
	s_abs_i32 s26, s28
	s_delay_alu instid0(SALU_CYCLE_1) | instskip(NEXT) | instid1(VALU_DEP_1)
	s_sub_i32 s3, 0, s26
	v_mad_u64_u32 v[12:13], null, s27, v17, v[0:1]
	v_mad_u64_u32 v[0:1], null, s27, v18, v[3:4]
	v_add_nc_u32_e32 v1, -1, v15
	v_dual_sub_f32 v13, v14, v5 :: v_dual_sub_f32 v14, 1.0, v16
	v_fmaak_f32 v17, s2, v19, 0x40700000
	v_mov_b32_e32 v5, v10
	v_mov_b32_e32 v3, v11
	v_dual_mov_b32 v9, v0 :: v_dual_fmaak_f32 v0, s4, v16, 0xc0100000
	s_delay_alu instid0(VALU_DEP_4) | instskip(SKIP_2) | instid1(VALU_DEP_4)
	v_dual_add_f32 v10, 1.0, v14 :: v_dual_fmaak_f32 v11, v19, v17, 0xc0c00000
	v_sub_f32_e32 v28, 1.0, v13
	v_ashrrev_i32_e32 v18, 31, v21
	v_mul_f32_e32 v0, v16, v0
	s_delay_alu instid0(VALU_DEP_4) | instskip(SKIP_2) | instid1(VALU_DEP_4)
	v_dual_mov_b32 v7, v12 :: v_dual_fmaak_f32 v22, v19, v11, 0x40400000
	v_fmaak_f32 v12, s4, v14, 0xc0100000
	v_fmaak_f32 v17, s2, v10, 0x40700000
	v_fma_f32 v23, v16, v0, 1.0
	v_mul_lo_u32 v33, s42, v18
	v_mad_u64_u32 v[18:19], null, s42, v21, 0
	v_dual_mul_f32 v11, v14, v12 :: v_dual_add_f32 v12, 1.0, v13
	v_ashrrev_i32_e32 v16, 31, v20
	v_minmax_i32 v34, v1, s5, 0
	v_lshlrev_b64 v[4:5], 1, v[4:5]
	s_delay_alu instid0(VALU_DEP_4)
	v_fma_f32 v24, v14, v11, 1.0
	v_fmaak_f32 v14, s4, v13, 0xc0100000
	v_fmaak_f32 v11, s2, v12, 0x40700000
	v_add3_u32 v19, v19, v33, v32
	v_minmax_i32 v33, v15, s5, 0
	v_mul_lo_u32 v31, s40, v16
	v_mul_f32_e32 v14, v13, v14
	v_dual_fmaak_f32 v0, v10, v17, 0xc0c00000 :: v_dual_fmaak_f32 v11, v12, v11, 0xc0c00000
	v_mad_u64_u32 v[16:17], null, s40, v20, 0
	s_delay_alu instid0(VALU_DEP_3) | instskip(NEXT) | instid1(VALU_DEP_3)
	v_fma_f32 v27, v13, v14, 1.0
	v_fmaak_f32 v25, v10, v0, 0x40400000
	v_add_f32_e32 v10, 1.0, v28
	v_dual_fmaak_f32 v0, s4, v28, 0xc0100000 :: v_dual_add_nc_u32 v13, 2, v15
	v_lshlrev_b64 v[6:7], 1, v[6:7]
	v_add3_u32 v17, v17, v31, v30
	s_delay_alu instid0(VALU_DEP_4) | instskip(NEXT) | instid1(VALU_DEP_4)
	v_fmaak_f32 v26, s2, v10, 0x40700000
	v_mul_f32_e32 v0, v28, v0
	v_minmax_i32 v36, v13, s5, 0
	v_lshlrev_b64 v[8:9], 1, v[8:9]
	v_lshlrev_b64 v[16:17], 1, v[16:17]
	v_fmaak_f32 v29, v10, v26, 0xc0c00000
	v_fmaak_f32 v26, v12, v11, 0x40400000
	v_cvt_f32_u32_e32 v12, s26
	v_fma_f32 v28, v28, v0, 1.0
	v_mad_u64_u32 v[0:1], null, s24, v34, 0
	v_dual_fmaak_f32 v29, v10, v29, 0x40400000 :: v_dual_add_nc_u32 v10, 1, v15
	s_delay_alu instid0(VALU_DEP_4) | instskip(SKIP_2) | instid1(VALU_DEP_3)
	v_rcp_iflag_f32_e32 v32, v12
	v_mad_u64_u32 v[14:15], null, s24, v36, 0
	v_lshlrev_b64 v[18:19], 1, v[18:19]
	v_minmax_i32 v35, v10, s5, 0
	v_mad_u64_u32 v[10:11], null, s24, v33, 0
	v_mad_u64_u32 v[30:31], null, s25, v34, v[1:2]
	s_delay_alu instid0(VALU_DEP_3) | instskip(NEXT) | instid1(TRANS32_DEP_1)
	v_mad_u64_u32 v[12:13], null, s24, v35, 0
	v_mul_f32_e32 v34, 0x4f7ffffe, v32
	s_load_b32 s24, s[34:35], 0x8
	s_delay_alu instid0(VALU_DEP_2) | instskip(NEXT) | instid1(VALU_DEP_3)
	v_mov_b32_e32 v1, v13
	v_mad_u64_u32 v[31:32], null, s25, v33, v[11:12]
	v_mov_b32_e32 v11, v15
	s_delay_alu instid0(VALU_DEP_3) | instskip(SKIP_2) | instid1(VALU_DEP_4)
	v_mad_u64_u32 v[32:33], null, s25, v35, v[1:2]
	v_mov_b32_e32 v1, v30
	v_cvt_u32_f32_e32 v13, v34
	v_mad_u64_u32 v[33:34], null, s25, v36, v[11:12]
	v_mov_b32_e32 v11, v31
	s_delay_alu instid0(VALU_DEP_4) | instskip(NEXT) | instid1(VALU_DEP_4)
	v_lshlrev_b64 v[0:1], 1, v[0:1]
	v_readfirstlane_b32 s2, v13
	v_mov_b32_e32 v13, v32
	v_lshlrev_b64 v[2:3], 1, v[2:3]
	v_lshlrev_b64 v[10:11], 1, v[10:11]
	v_mov_b32_e32 v15, v33
	s_mul_i32 s3, s3, s2
	v_lshlrev_b64 v[12:13], 1, v[12:13]
	s_mul_hi_u32 s3, s2, s3
	s_ashr_i32 s25, s28, 31
	v_lshlrev_b64 v[14:15], 1, v[14:15]
	s_add_i32 s27, s2, s3
.LBB4_4:                                ; =>This Inner Loop Header: Depth=1
	s_abs_i32 s2, s33
	s_ashr_i32 s3, s33, 31
	s_mul_hi_u32 s4, s2, s27
	s_xor_b32 s3, s3, s25
	s_mul_i32 s5, s4, s26
	s_add_i32 s6, s4, 1
	s_sub_i32 s2, s2, s5
	s_delay_alu instid0(SALU_CYCLE_1)
	s_sub_i32 s5, s2, s26
	s_cmp_ge_u32 s2, s26
	s_cselect_b32 s4, s6, s4
	s_cselect_b32 s2, s5, s2
	s_add_i32 s5, s4, 1
	s_cmp_ge_u32 s2, s26
	s_cselect_b32 s2, s5, s4
	s_delay_alu instid0(SALU_CYCLE_1) | instskip(NEXT) | instid1(SALU_CYCLE_1)
	s_xor_b32 s2, s2, s3
	s_sub_i32 s40, s2, s3
	s_delay_alu instid0(SALU_CYCLE_1)
	s_ashr_i32 s41, s40, 31
	s_mul_i32 s3, s30, s40
	s_mul_hi_u32 s4, s20, s40
	s_mul_i32 s6, s20, s41
	s_mul_i32 s5, s21, s40
	s_add_i32 s42, s33, s3
	s_add_i32 s3, s4, s6
	s_mul_i32 s2, s20, s40
	s_add_i32 s3, s3, s5
	s_mul_hi_u32 s6, s22, s42
	s_lshl_b64 s[2:3], s[2:3], 1
	s_mul_i32 s7, s23, s42
	s_add_u32 s8, s18, s2
	s_addc_u32 s9, s19, s3
	s_ashr_i32 s43, s42, 31
	s_mul_i32 s4, s22, s42
	s_mul_i32 s2, s22, s43
	s_delay_alu instid0(SALU_CYCLE_1) | instskip(NEXT) | instid1(SALU_CYCLE_1)
	s_add_i32 s2, s6, s2
	s_add_i32 s5, s2, s7
	s_delay_alu instid0(SALU_CYCLE_1) | instskip(NEXT) | instid1(SALU_CYCLE_1)
	s_lshl_b64 s[2:3], s[4:5], 1
	s_add_u32 s4, s8, s2
	s_addc_u32 s5, s9, s3
	v_add_co_u32 v31, vcc_lo, s4, v10
	v_add_co_u32 v33, s2, s4, v12
	v_add_co_u32 v35, s3, s4, v14
	;; [unrolled: 1-line block ×3, first 2 shown]
	s_delay_alu instid0(VALU_DEP_1)
	v_add_co_ci_u32_e64 v39, s4, s5, v1, s4
	v_add_co_ci_u32_e32 v56, vcc_lo, s5, v11, vcc_lo
	v_add_co_ci_u32_e64 v50, vcc_lo, s5, v13, s2
	v_add_co_ci_u32_e64 v60, vcc_lo, s5, v15, s3
	v_add_co_u32 v30, vcc_lo, v37, v4
	v_add_co_u32 v58, s17, v37, v2
	v_add_co_u32 v32, s2, v37, v6
	v_add_co_u32 v34, s3, v37, v8
	v_add_co_u32 v36, s4, v31, v2
	v_add_co_u32 v38, s5, v31, v4
	v_add_co_u32 v40, s6, v31, v6
	v_add_co_u32 v42, s7, v31, v8
	v_add_co_ci_u32_e32 v31, vcc_lo, v39, v5, vcc_lo
	v_add_co_ci_u32_e64 v59, s17, v39, v3, s17
	v_add_co_u32 v43, s8, v33, v2
	v_add_co_u32 v45, s9, v33, v4
	;; [unrolled: 1-line block ×8, first 2 shown]
	v_add_co_ci_u32_e64 v33, vcc_lo, v39, v7, s2
	v_add_co_ci_u32_e64 v35, vcc_lo, v39, v9, s3
	;; [unrolled: 1-line block ×4, first 2 shown]
	s_clause 0x5
	global_load_u16 v30, v[30:31], off
	global_load_u16 v31, v[58:59], off
	;; [unrolled: 1-line block ×6, first 2 shown]
	v_add_co_ci_u32_e64 v41, vcc_lo, v56, v7, s6
	v_add_co_ci_u32_e64 v46, vcc_lo, v50, v5, s9
	;; [unrolled: 1-line block ×7, first 2 shown]
	s_clause 0x5
	global_load_u16 v35, v[45:46], off
	global_load_u16 v36, v[43:44], off
	;; [unrolled: 1-line block ×6, first 2 shown]
	v_add_co_ci_u32_e64 v43, vcc_lo, v56, v9, s7
	global_load_u16 v40, v[40:41], off
	v_add_co_ci_u32_e64 v56, vcc_lo, v60, v7, s14
	global_load_u16 v41, v[42:43], off
	v_add_co_ci_u32_e64 v58, vcc_lo, v60, v9, s16
	s_clause 0x1
	global_load_u16 v42, v[55:56], off
	global_load_u16 v43, v[57:58], off
	s_mul_hi_u32 s3, s36, s40
	s_mul_i32 s6, s36, s41
	s_mul_i32 s5, s37, s40
	s_add_i32 s3, s3, s6
	s_mul_i32 s2, s36, s40
	s_add_i32 s3, s3, s5
	s_mul_hi_u32 s7, s38, s42
	s_lshl_b64 s[2:3], s[2:3], 1
	s_mul_i32 s9, s38, s43
	s_add_u32 s6, s44, s2
	s_mul_i32 s8, s39, s42
	s_addc_u32 s10, s45, s3
	s_add_i32 s2, s7, s9
	s_mul_i32 s4, s38, s42
	s_add_i32 s5, s2, s8
	s_delay_alu instid0(SALU_CYCLE_1) | instskip(NEXT) | instid1(SALU_CYCLE_1)
	s_lshl_b64 s[2:3], s[4:5], 1
	s_add_u32 s2, s6, s2
	s_addc_u32 s3, s10, s3
	s_waitcnt lgkmcnt(0)
	s_add_i32 s33, s33, s24
	s_delay_alu instid0(SALU_CYCLE_1) | instskip(SKIP_4) | instid1(VALU_DEP_2)
	s_cmp_lt_i32 s33, s29
	s_waitcnt vmcnt(15)
	v_cvt_f32_f16_e32 v30, v30
	s_waitcnt vmcnt(13)
	v_cvt_f32_f16_e32 v38, v38
	v_mul_f32_e32 v30, v23, v30
	s_delay_alu instid0(VALU_DEP_2) | instskip(NEXT) | instid1(VALU_DEP_2)
	v_mul_f32_e32 v38, v23, v38
	v_fma_mix_f32 v30, v22, v31, v30 op_sel_hi:[0,1,0]
	s_waitcnt vmcnt(10)
	s_delay_alu instid0(VALU_DEP_2)
	v_fma_mix_f32 v34, v22, v34, v38 op_sel_hi:[0,1,0]
	s_waitcnt vmcnt(9)
	v_cvt_f32_f16_e32 v35, v35
	v_fma_mix_f32 v30, v24, v32, v30 op_sel_hi:[0,1,0]
	s_waitcnt vmcnt(7)
	v_cvt_f32_f16_e32 v31, v37
	s_delay_alu instid0(VALU_DEP_2)
	v_fma_mix_f32 v30, v25, v33, v30 op_sel_hi:[0,1,0]
	v_mul_f32_e32 v35, v23, v35
	s_waitcnt vmcnt(3)
	v_fma_mix_f32 v34, v24, v40, v34 op_sel_hi:[0,1,0]
	v_mul_f32_e32 v31, v23, v31
	s_waitcnt vmcnt(2)
	s_delay_alu instid0(VALU_DEP_2) | instskip(SKIP_3) | instid1(VALU_DEP_3)
	v_fma_mix_f32 v33, v25, v41, v34 op_sel_hi:[0,1,0]
	v_mul_f32_e32 v34, v26, v30
	v_fma_mix_f32 v32, v22, v36, v35 op_sel_hi:[0,1,0]
	v_fma_mix_f32 v31, v22, v45, v31 op_sel_hi:[0,1,0]
	v_fmac_f32_e32 v34, v27, v33
	s_delay_alu instid0(VALU_DEP_3) | instskip(SKIP_1) | instid1(VALU_DEP_3)
	v_fma_mix_f32 v32, v24, v39, v32 op_sel_hi:[0,1,0]
	s_waitcnt vmcnt(1)
	v_fma_mix_f32 v30, v24, v42, v31 op_sel_hi:[0,1,0]
	s_delay_alu instid0(VALU_DEP_2)
	v_fma_mix_f32 v31, v25, v44, v32 op_sel_hi:[0,1,0]
	v_add_co_u32 v32, vcc_lo, s2, v16
	v_add_co_ci_u32_e32 v33, vcc_lo, s3, v17, vcc_lo
	s_waitcnt vmcnt(0)
	v_fma_mix_f32 v35, v25, v43, v30 op_sel_hi:[0,1,0]
	v_fmac_f32_e32 v34, v28, v31
	v_add_co_u32 v30, vcc_lo, v32, v18
	v_add_co_ci_u32_e32 v31, vcc_lo, v33, v19, vcc_lo
	s_delay_alu instid0(VALU_DEP_3)
	v_fma_mixlo_f16 v32, v29, v35, v34
	global_store_b16 v[30:31], v32, off
	s_cbranch_scc1 .LBB4_4
.LBB4_5:
	s_mov_b32 s4, 0
.LBB4_6:
	s_delay_alu instid0(SALU_CYCLE_1)
	s_and_not1_b32 vcc_lo, exec_lo, s4
	s_cbranch_vccnz .LBB4_10
; %bb.7:
	s_and_not1_b32 vcc_lo, exec_lo, s31
	s_cbranch_vccnz .LBB4_10
; %bb.8:
	s_abs_i32 s12, s28
	s_load_b256 s[4:11], s[0:1], 0x38
	v_cvt_f32_u32_e32 v0, s12
	s_load_b256 s[16:23], s[0:1], 0x80
	v_ashrrev_i32_e32 v4, 31, v20
	v_ashrrev_i32_e32 v6, 31, v21
	s_load_b64 s[2:3], s[0:1], 0x10
	v_rcp_iflag_f32_e32 v0, v0
	s_load_b64 s[0:1], s[0:1], 0x58
	s_waitcnt_depctr 0xfff
	v_mul_f32_e32 v7, 0x4f7ffffe, v0
	s_waitcnt lgkmcnt(0)
	v_mul_lo_u32 v9, s8, v4
	v_mad_u64_u32 v[0:1], null, s8, v20, 0
	s_load_b32 s8, s[34:35], 0x8
	v_mul_lo_u32 v8, s9, v20
	v_mul_lo_u32 v10, s11, v21
	;; [unrolled: 1-line block ×3, first 2 shown]
	v_mad_u64_u32 v[2:3], null, s10, v21, 0
	v_mul_lo_u32 v12, s21, v20
	v_mul_lo_u32 v13, s20, v4
	v_mad_u64_u32 v[4:5], null, s20, v20, 0
	v_mul_lo_u32 v14, s23, v21
	v_mul_lo_u32 v15, s22, v6
	v_cvt_u32_f32_e32 v16, v7
	v_mad_u64_u32 v[6:7], null, s22, v21, 0
	v_add3_u32 v1, v1, v9, v8
	v_add3_u32 v3, v3, v11, v10
	s_delay_alu instid0(VALU_DEP_4)
	v_readfirstlane_b32 s10, v16
	v_add3_u32 v5, v5, v13, v12
	s_sub_i32 s9, 0, s12
	v_lshlrev_b64 v[0:1], 1, v[0:1]
	v_add3_u32 v7, v7, v15, v14
	s_mul_i32 s9, s9, s10
	v_lshlrev_b64 v[2:3], 1, v[2:3]
	v_lshlrev_b64 v[4:5], 1, v[4:5]
	s_mul_hi_u32 s11, s10, s9
	v_lshlrev_b64 v[6:7], 1, v[6:7]
	s_ashr_i32 s9, s28, 31
	s_add_i32 s10, s10, s11
	s_sub_i32 s11, 0, s28
.LBB4_9:                                ; =>This Inner Loop Header: Depth=1
	s_abs_i32 s13, s15
	s_ashr_i32 s14, s15, 31
	s_mul_hi_u32 s20, s13, s10
	s_xor_b32 s14, s14, s9
	s_mul_i32 s21, s20, s12
	s_add_i32 s22, s20, 1
	s_sub_i32 s13, s13, s21
	s_delay_alu instid0(SALU_CYCLE_1)
	s_sub_i32 s21, s13, s12
	s_cmp_ge_u32 s13, s12
	s_cselect_b32 s20, s22, s20
	s_cselect_b32 s13, s21, s13
	s_add_i32 s21, s20, 1
	s_cmp_ge_u32 s13, s12
	s_cselect_b32 s13, s21, s20
	s_delay_alu instid0(SALU_CYCLE_1) | instskip(NEXT) | instid1(SALU_CYCLE_1)
	s_xor_b32 s13, s13, s14
	s_sub_i32 s13, s13, s14
	s_delay_alu instid0(SALU_CYCLE_1)
	s_ashr_i32 s24, s13, 31
	s_mul_hi_u32 s21, s4, s13
	s_mul_i32 s22, s4, s24
	s_mul_i32 s23, s5, s13
	s_add_i32 s21, s21, s22
	s_mul_i32 s20, s4, s13
	s_add_i32 s21, s21, s23
	s_mul_i32 s14, s11, s13
	s_lshl_b64 s[20:21], s[20:21], 1
	s_add_i32 s14, s15, s14
	s_add_u32 s27, s2, s20
	s_addc_u32 s28, s3, s21
	s_ashr_i32 s30, s14, 31
	s_mul_hi_u32 s25, s6, s14
	s_mul_i32 s20, s6, s30
	s_mul_i32 s26, s7, s14
	s_add_i32 s20, s25, s20
	s_mul_i32 s22, s6, s14
	s_add_i32 s23, s20, s26
	s_mul_i32 s25, s19, s14
	s_lshl_b64 s[20:21], s[22:23], 1
	s_mul_i32 s23, s17, s13
	s_add_u32 s20, s27, s20
	s_addc_u32 s21, s28, s21
	v_add_co_u32 v8, vcc_lo, s20, v0
	v_add_co_ci_u32_e32 v9, vcc_lo, s21, v1, vcc_lo
	s_mul_hi_u32 s21, s16, s13
	s_delay_alu instid0(VALU_DEP_2) | instskip(NEXT) | instid1(VALU_DEP_2)
	v_add_co_u32 v8, vcc_lo, v8, v2
	v_add_co_ci_u32_e32 v9, vcc_lo, v9, v3, vcc_lo
	s_mul_i32 s20, s16, s13
	s_mul_i32 s13, s16, s24
	s_mul_hi_u32 s24, s18, s14
	global_load_u16 v10, v[8:9], off
	s_add_i32 s13, s21, s13
	s_mul_i32 s22, s18, s14
	s_add_i32 s21, s13, s23
	s_mul_i32 s14, s18, s30
	s_lshl_b64 s[20:21], s[20:21], 1
	s_delay_alu instid0(SALU_CYCLE_1) | instskip(SKIP_2) | instid1(SALU_CYCLE_1)
	s_add_u32 s13, s0, s20
	s_addc_u32 s26, s1, s21
	s_add_i32 s14, s24, s14
	s_add_i32 s23, s14, s25
	s_delay_alu instid0(SALU_CYCLE_1) | instskip(NEXT) | instid1(SALU_CYCLE_1)
	s_lshl_b64 s[20:21], s[22:23], 1
	s_add_u32 s13, s13, s20
	s_addc_u32 s14, s26, s21
	v_add_co_u32 v8, vcc_lo, s13, v4
	v_add_co_ci_u32_e32 v9, vcc_lo, s14, v5, vcc_lo
	s_waitcnt lgkmcnt(0)
	s_add_i32 s15, s15, s8
	s_delay_alu instid0(VALU_DEP_2) | instskip(NEXT) | instid1(VALU_DEP_2)
	v_add_co_u32 v8, vcc_lo, v8, v6
	v_add_co_ci_u32_e32 v9, vcc_lo, v9, v7, vcc_lo
	s_cmp_ge_i32 s15, s29
	s_waitcnt vmcnt(0)
	global_store_b16 v[8:9], v10, off
	s_cbranch_scc0 .LBB4_9
.LBB4_10:
	s_nop 0
	s_sendmsg sendmsg(MSG_DEALLOC_VGPRS)
	s_endpgm
	.section	.rodata,"a",@progbits
	.p2align	6, 0x0
	.amdhsa_kernel _ZN2at6native12_GLOBAL__N_137upsample_bicubic2d_out_frame_parallelIN3c104HalfEfEEviT0_S5_bN5torch10headeronly6detail27GenericPackedTensorAccessorINS8_14TensorAccessorINS3_8ArrayRefIlEEKT_Lm3ENS7_16DefaultPtrTraitsElEENS_6detail16IndexBoundsCheckILm4ElEESE_Lm4ESF_lEENS9_INSA_ISC_SD_Lm3ESF_lEESJ_SD_Lm4ESF_lEE
		.amdhsa_group_segment_fixed_size 0
		.amdhsa_private_segment_fixed_size 0
		.amdhsa_kernarg_size 416
		.amdhsa_user_sgpr_count 14
		.amdhsa_user_sgpr_dispatch_ptr 0
		.amdhsa_user_sgpr_queue_ptr 0
		.amdhsa_user_sgpr_kernarg_segment_ptr 1
		.amdhsa_user_sgpr_dispatch_id 0
		.amdhsa_user_sgpr_private_segment_size 0
		.amdhsa_wavefront_size32 1
		.amdhsa_uses_dynamic_stack 0
		.amdhsa_enable_private_segment 0
		.amdhsa_system_sgpr_workgroup_id_x 1
		.amdhsa_system_sgpr_workgroup_id_y 0
		.amdhsa_system_sgpr_workgroup_id_z 1
		.amdhsa_system_sgpr_workgroup_info 0
		.amdhsa_system_vgpr_workitem_id 0
		.amdhsa_next_free_vgpr 61
		.amdhsa_next_free_sgpr 46
		.amdhsa_reserve_vcc 1
		.amdhsa_float_round_mode_32 0
		.amdhsa_float_round_mode_16_64 0
		.amdhsa_float_denorm_mode_32 3
		.amdhsa_float_denorm_mode_16_64 3
		.amdhsa_dx10_clamp 1
		.amdhsa_ieee_mode 1
		.amdhsa_fp16_overflow 0
		.amdhsa_workgroup_processor_mode 1
		.amdhsa_memory_ordered 1
		.amdhsa_forward_progress 0
		.amdhsa_shared_vgpr_count 0
		.amdhsa_exception_fp_ieee_invalid_op 0
		.amdhsa_exception_fp_denorm_src 0
		.amdhsa_exception_fp_ieee_div_zero 0
		.amdhsa_exception_fp_ieee_overflow 0
		.amdhsa_exception_fp_ieee_underflow 0
		.amdhsa_exception_fp_ieee_inexact 0
		.amdhsa_exception_int_div_zero 0
	.end_amdhsa_kernel
	.section	.text._ZN2at6native12_GLOBAL__N_137upsample_bicubic2d_out_frame_parallelIN3c104HalfEfEEviT0_S5_bN5torch10headeronly6detail27GenericPackedTensorAccessorINS8_14TensorAccessorINS3_8ArrayRefIlEEKT_Lm3ENS7_16DefaultPtrTraitsElEENS_6detail16IndexBoundsCheckILm4ElEESE_Lm4ESF_lEENS9_INSA_ISC_SD_Lm3ESF_lEESJ_SD_Lm4ESF_lEE,"axG",@progbits,_ZN2at6native12_GLOBAL__N_137upsample_bicubic2d_out_frame_parallelIN3c104HalfEfEEviT0_S5_bN5torch10headeronly6detail27GenericPackedTensorAccessorINS8_14TensorAccessorINS3_8ArrayRefIlEEKT_Lm3ENS7_16DefaultPtrTraitsElEENS_6detail16IndexBoundsCheckILm4ElEESE_Lm4ESF_lEENS9_INSA_ISC_SD_Lm3ESF_lEESJ_SD_Lm4ESF_lEE,comdat
.Lfunc_end4:
	.size	_ZN2at6native12_GLOBAL__N_137upsample_bicubic2d_out_frame_parallelIN3c104HalfEfEEviT0_S5_bN5torch10headeronly6detail27GenericPackedTensorAccessorINS8_14TensorAccessorINS3_8ArrayRefIlEEKT_Lm3ENS7_16DefaultPtrTraitsElEENS_6detail16IndexBoundsCheckILm4ElEESE_Lm4ESF_lEENS9_INSA_ISC_SD_Lm3ESF_lEESJ_SD_Lm4ESF_lEE, .Lfunc_end4-_ZN2at6native12_GLOBAL__N_137upsample_bicubic2d_out_frame_parallelIN3c104HalfEfEEviT0_S5_bN5torch10headeronly6detail27GenericPackedTensorAccessorINS8_14TensorAccessorINS3_8ArrayRefIlEEKT_Lm3ENS7_16DefaultPtrTraitsElEENS_6detail16IndexBoundsCheckILm4ElEESE_Lm4ESF_lEENS9_INSA_ISC_SD_Lm3ESF_lEESJ_SD_Lm4ESF_lEE
                                        ; -- End function
	.section	.AMDGPU.csdata,"",@progbits
; Kernel info:
; codeLenInByte = 2896
; NumSgprs: 48
; NumVgprs: 61
; ScratchSize: 0
; MemoryBound: 0
; FloatMode: 240
; IeeeMode: 1
; LDSByteSize: 0 bytes/workgroup (compile time only)
; SGPRBlocks: 5
; VGPRBlocks: 7
; NumSGPRsForWavesPerEU: 48
; NumVGPRsForWavesPerEU: 61
; Occupancy: 16
; WaveLimiterHint : 1
; COMPUTE_PGM_RSRC2:SCRATCH_EN: 0
; COMPUTE_PGM_RSRC2:USER_SGPR: 14
; COMPUTE_PGM_RSRC2:TRAP_HANDLER: 0
; COMPUTE_PGM_RSRC2:TGID_X_EN: 1
; COMPUTE_PGM_RSRC2:TGID_Y_EN: 0
; COMPUTE_PGM_RSRC2:TGID_Z_EN: 1
; COMPUTE_PGM_RSRC2:TIDIG_COMP_CNT: 0
	.section	.text._ZN2at6native12_GLOBAL__N_128upsample_bicubic2d_out_frameIN3c104HalfEfEEviT0_S5_bN5torch10headeronly6detail27GenericPackedTensorAccessorINS8_14TensorAccessorINS3_8ArrayRefIlEEKT_Lm3ENS7_16DefaultPtrTraitsElEENS_6detail16IndexBoundsCheckILm4ElEESE_Lm4ESF_lEENS9_INSA_ISC_SD_Lm3ESF_lEESJ_SD_Lm4ESF_lEE,"axG",@progbits,_ZN2at6native12_GLOBAL__N_128upsample_bicubic2d_out_frameIN3c104HalfEfEEviT0_S5_bN5torch10headeronly6detail27GenericPackedTensorAccessorINS8_14TensorAccessorINS3_8ArrayRefIlEEKT_Lm3ENS7_16DefaultPtrTraitsElEENS_6detail16IndexBoundsCheckILm4ElEESE_Lm4ESF_lEENS9_INSA_ISC_SD_Lm3ESF_lEESJ_SD_Lm4ESF_lEE,comdat
	.globl	_ZN2at6native12_GLOBAL__N_128upsample_bicubic2d_out_frameIN3c104HalfEfEEviT0_S5_bN5torch10headeronly6detail27GenericPackedTensorAccessorINS8_14TensorAccessorINS3_8ArrayRefIlEEKT_Lm3ENS7_16DefaultPtrTraitsElEENS_6detail16IndexBoundsCheckILm4ElEESE_Lm4ESF_lEENS9_INSA_ISC_SD_Lm3ESF_lEESJ_SD_Lm4ESF_lEE ; -- Begin function _ZN2at6native12_GLOBAL__N_128upsample_bicubic2d_out_frameIN3c104HalfEfEEviT0_S5_bN5torch10headeronly6detail27GenericPackedTensorAccessorINS8_14TensorAccessorINS3_8ArrayRefIlEEKT_Lm3ENS7_16DefaultPtrTraitsElEENS_6detail16IndexBoundsCheckILm4ElEESE_Lm4ESF_lEENS9_INSA_ISC_SD_Lm3ESF_lEESJ_SD_Lm4ESF_lEE
	.p2align	8
	.type	_ZN2at6native12_GLOBAL__N_128upsample_bicubic2d_out_frameIN3c104HalfEfEEviT0_S5_bN5torch10headeronly6detail27GenericPackedTensorAccessorINS8_14TensorAccessorINS3_8ArrayRefIlEEKT_Lm3ENS7_16DefaultPtrTraitsElEENS_6detail16IndexBoundsCheckILm4ElEESE_Lm4ESF_lEENS9_INSA_ISC_SD_Lm3ESF_lEESJ_SD_Lm4ESF_lEE,@function
_ZN2at6native12_GLOBAL__N_128upsample_bicubic2d_out_frameIN3c104HalfEfEEviT0_S5_bN5torch10headeronly6detail27GenericPackedTensorAccessorINS8_14TensorAccessorINS3_8ArrayRefIlEEKT_Lm3ENS7_16DefaultPtrTraitsElEENS_6detail16IndexBoundsCheckILm4ElEESE_Lm4ESF_lEENS9_INSA_ISC_SD_Lm3ESF_lEESJ_SD_Lm4ESF_lEE: ; @_ZN2at6native12_GLOBAL__N_128upsample_bicubic2d_out_frameIN3c104HalfEfEEviT0_S5_bN5torch10headeronly6detail27GenericPackedTensorAccessorINS8_14TensorAccessorINS3_8ArrayRefIlEEKT_Lm3ENS7_16DefaultPtrTraitsElEENS_6detail16IndexBoundsCheckILm4ElEESE_Lm4ESF_lEENS9_INSA_ISC_SD_Lm3ESF_lEESJ_SD_Lm4ESF_lEE
; %bb.0:
	s_clause 0x1
	s_load_b32 s2, s[0:1], 0xac
	s_load_b128 s[16:19], s[0:1], 0x0
	s_waitcnt lgkmcnt(0)
	s_and_b32 s2, s2, 0xffff
	s_delay_alu instid0(SALU_CYCLE_1) | instskip(SKIP_1) | instid1(VALU_DEP_1)
	v_mad_u64_u32 v[1:2], null, s15, s2, v[0:1]
	s_mov_b32 s2, exec_lo
	v_cmpx_gt_i32_e64 s16, v1
	s_cbranch_execz .LBB5_14
; %bb.1:
	s_load_b128 s[12:15], s[0:1], 0x70
	v_sub_nc_u32_e32 v3, 0, v1
	s_load_b256 s[4:11], s[0:1], 0x18
	s_delay_alu instid0(VALU_DEP_1) | instskip(SKIP_2) | instid1(SALU_CYCLE_1)
	v_max_i32_e32 v3, v1, v3
	s_waitcnt lgkmcnt(0)
	s_abs_i32 s2, s14
	v_cvt_f32_u32_e32 v0, s2
	s_sub_i32 s3, 0, s2
	s_cmp_lg_u32 s8, s12
	s_delay_alu instid0(VALU_DEP_1) | instskip(SKIP_2) | instid1(VALU_DEP_1)
	v_rcp_iflag_f32_e32 v0, v0
	s_waitcnt_depctr 0xfff
	v_mul_f32_e32 v0, 0x4f7ffffe, v0
	v_cvt_u32_f32_e32 v0, v0
	s_delay_alu instid0(VALU_DEP_1) | instskip(NEXT) | instid1(VALU_DEP_1)
	v_mul_lo_u32 v2, s3, v0
	v_mul_hi_u32 v2, v0, v2
	s_delay_alu instid0(VALU_DEP_1) | instskip(NEXT) | instid1(VALU_DEP_1)
	v_add_nc_u32_e32 v0, v0, v2
	v_mul_hi_u32 v0, v3, v0
	s_delay_alu instid0(VALU_DEP_1) | instskip(NEXT) | instid1(VALU_DEP_1)
	v_mul_lo_u32 v2, v0, s2
	v_sub_nc_u32_e32 v2, v3, v2
	v_add_nc_u32_e32 v3, 1, v0
	s_delay_alu instid0(VALU_DEP_2) | instskip(SKIP_1) | instid1(VALU_DEP_3)
	v_subrev_nc_u32_e32 v4, s2, v2
	v_cmp_le_u32_e32 vcc_lo, s2, v2
	v_cndmask_b32_e32 v0, v0, v3, vcc_lo
	s_delay_alu instid0(VALU_DEP_3) | instskip(SKIP_1) | instid1(VALU_DEP_3)
	v_cndmask_b32_e32 v2, v2, v4, vcc_lo
	v_xor_b32_e32 v3, s14, v1
	v_add_nc_u32_e32 v4, 1, v0
	s_delay_alu instid0(VALU_DEP_3) | instskip(NEXT) | instid1(VALU_DEP_3)
	v_cmp_le_u32_e32 vcc_lo, s2, v2
	v_ashrrev_i32_e32 v3, 31, v3
	s_cselect_b32 s2, -1, 0
	s_cmp_lg_u32 s10, s14
	v_cndmask_b32_e32 v0, v0, v4, vcc_lo
	s_cselect_b32 s3, -1, 0
	s_delay_alu instid0(SALU_CYCLE_1) | instskip(SKIP_1) | instid1(VALU_DEP_1)
	s_or_b32 s2, s3, s2
	s_cmp_gt_i32 s4, 0
	v_xor_b32_e32 v0, v0, v3
	s_cselect_b32 s5, -1, 0
	s_and_b32 vcc_lo, exec_lo, s2
	s_mov_b32 s2, -1
	s_delay_alu instid0(VALU_DEP_1) | instskip(NEXT) | instid1(VALU_DEP_1)
	v_sub_nc_u32_e32 v4, v0, v3
	v_mul_lo_u32 v0, v4, s14
	s_delay_alu instid0(VALU_DEP_1)
	v_sub_nc_u32_e32 v5, v1, v0
	s_cbranch_vccz .LBB5_8
; %bb.2:
	s_and_not1_b32 vcc_lo, exec_lo, s5
	s_cbranch_vccnz .LBB5_7
; %bb.3:
	v_cvt_f32_i32_e32 v0, v4
	v_cvt_f32_i32_e32 v1, v5
	s_bitcmp1_b32 s19, 0
	s_mov_b32 s11, 0x3fa00000
	s_cselect_b32 vcc_lo, -1, 0
	s_delay_alu instid0(VALU_DEP_1) | instskip(SKIP_2) | instid1(VALU_DEP_2)
	v_dual_add_f32 v2, 0.5, v0 :: v_dual_add_f32 v3, 0.5, v1
	v_dual_mul_f32 v0, s17, v0 :: v_dual_mul_f32 v1, s18, v1
	s_cmp_gt_i32 s6, 0
	v_fma_f32 v2, v2, s17, -0.5
	s_delay_alu instid0(VALU_DEP_3) | instskip(SKIP_3) | instid1(VALU_DEP_1)
	v_fma_f32 v3, v3, s18, -0.5
	s_cselect_b32 s30, -1, 0
	s_add_i32 s10, s10, -1
	s_mov_b32 s9, 0xbf400000
	v_dual_cndmask_b32 v0, v2, v0 :: v_dual_cndmask_b32 v1, v3, v1
	s_clause 0x2
	s_load_b256 s[20:27], s[0:1], 0x80
	s_load_b256 s[12:19], s[0:1], 0x38
	s_load_b64 s[28:29], s[0:1], 0x58
	s_add_i32 s8, s8, -1
	v_floor_f32_e32 v2, v0
	v_floor_f32_e32 v3, v1
	s_load_b64 s[2:3], s[0:1], 0x10
	s_mov_b32 s7, 0
	s_delay_alu instid0(VALU_DEP_2) | instskip(NEXT) | instid1(VALU_DEP_2)
	v_cvt_i32_f32_e32 v22, v2
	v_cvt_i32_f32_e32 v2, v3
	s_delay_alu instid0(VALU_DEP_2) | instskip(NEXT) | instid1(VALU_DEP_2)
	v_cvt_f32_i32_e32 v3, v22
	v_cvt_f32_i32_e32 v6, v2
	v_add_nc_u32_e32 v11, -1, v22
	v_minmax_i32 v23, v2, s10, 0
	s_delay_alu instid0(VALU_DEP_3)
	v_dual_sub_f32 v12, v0, v3 :: v_dual_sub_f32 v1, v1, v6
	s_waitcnt lgkmcnt(0)
	v_mul_lo_u32 v17, s25, v4
	v_minmax_i32 v25, v11, s8, 0
	s_lshl_b64 s[12:13], s[12:13], 1
	v_dual_add_f32 v10, 1.0, v12 :: v_dual_add_nc_u32 v7, -1, v2
	v_add_f32_e32 v0, 1.0, v1
	v_dual_sub_f32 v3, 1.0, v1 :: v_dual_add_nc_u32 v8, 1, v2
	v_add_nc_u32_e32 v2, 2, v2
	s_delay_alu instid0(VALU_DEP_4) | instskip(SKIP_1) | instid1(VALU_DEP_4)
	v_minmax_i32 v24, v7, s10, 0
	v_fmaak_f32 v16, s9, v10, 0x40700000
	v_minmax_i32 v26, v8, s10, 0
	v_fmaak_f32 v7, s11, v3, 0xc0100000
	v_minmax_i32 v28, v2, s10, 0
	v_dual_fmaak_f32 v2, s11, v1, 0xc0100000 :: v_dual_add_f32 v9, 1.0, v3
	v_fmaak_f32 v6, s9, v0, 0x40700000
	v_sub_f32_e32 v13, 1.0, v12
	s_lshl_b64 s[14:15], s[14:15], 1
	s_delay_alu instid0(VALU_DEP_3) | instskip(NEXT) | instid1(VALU_DEP_3)
	v_dual_mul_f32 v2, v1, v2 :: v_dual_fmaak_f32 v15, s9, v9, 0x40700000
	v_fmaak_f32 v8, v0, v6, 0xc0c00000
	v_mul_f32_e32 v14, v3, v7
	s_delay_alu instid0(VALU_DEP_3) | instskip(NEXT) | instid1(VALU_DEP_3)
	v_fma_f32 v6, v1, v2, 1.0
	v_fmaak_f32 v7, v0, v8, 0x40400000
	s_delay_alu instid0(VALU_DEP_3) | instskip(SKIP_4) | instid1(VALU_DEP_4)
	v_fma_f32 v8, v3, v14, 1.0
	v_fmaak_f32 v14, s11, v12, 0xc0100000
	v_dual_fmaak_f32 v2, v9, v15, 0xc0c00000 :: v_dual_fmaak_f32 v3, v10, v16, 0xc0c00000
	v_fmaak_f32 v15, s11, v13, 0xc0100000
	v_ashrrev_i32_e32 v0, 31, v4
	v_dual_mul_f32 v19, v12, v14 :: v_dual_add_f32 v16, 1.0, v13
	s_delay_alu instid0(VALU_DEP_4) | instskip(SKIP_1) | instid1(VALU_DEP_3)
	v_fmaak_f32 v9, v9, v2, 0x40400000
	s_lshl_b64 s[10:11], s[22:23], 1
	v_mul_lo_u32 v18, s24, v0
	v_mad_u64_u32 v[0:1], null, s24, v4, 0
	v_fmaak_f32 v2, s9, v16, 0x40700000
	v_mul_f32_e32 v20, v13, v15
	v_mad_u64_u32 v[14:15], null, s16, v25, 0
	v_fma_f32 v11, v12, v19, 1.0
	s_delay_alu instid0(VALU_DEP_4)
	v_fmaak_f32 v21, v16, v2, 0xc0c00000
	v_fmaak_f32 v10, v10, v3, 0x40400000
	v_ashrrev_i32_e32 v3, 31, v5
	v_add3_u32 v1, v1, v18, v17
	v_mul_lo_u32 v18, s27, v5
	v_fma_f32 v12, v13, v20, 1.0
	v_fmaak_f32 v13, v16, v21, 0x40400000
	v_mul_lo_u32 v27, s26, v3
	v_mad_u64_u32 v[2:3], null, s26, v5, 0
	v_lshlrev_b64 v[0:1], 1, v[0:1]
	v_mad_u64_u32 v[16:17], null, s18, v24, 0
	s_delay_alu instid0(VALU_DEP_3) | instskip(NEXT) | instid1(VALU_DEP_3)
	v_add3_u32 v3, v3, v27, v18
	v_add_co_u32 v27, vcc_lo, s28, v0
	s_delay_alu instid0(VALU_DEP_4) | instskip(NEXT) | instid1(VALU_DEP_3)
	v_add_co_ci_u32_e32 v29, vcc_lo, s29, v1, vcc_lo
	v_lshlrev_b64 v[0:1], 1, v[2:3]
	v_mov_b32_e32 v2, v17
	v_mad_u64_u32 v[17:18], null, s17, v25, v[15:16]
	v_mad_u64_u32 v[18:19], null, s18, v23, 0
	s_delay_alu instid0(VALU_DEP_3) | instskip(SKIP_2) | instid1(VALU_DEP_4)
	v_mad_u64_u32 v[20:21], null, s19, v24, v[2:3]
	v_add_co_u32 v0, vcc_lo, v27, v0
	v_add_co_ci_u32_e32 v1, vcc_lo, v29, v1, vcc_lo
	v_mov_b32_e32 v2, v19
	v_minmax_i32 v29, v22, s8, 0
	v_dual_mov_b32 v15, v17 :: v_dual_add_nc_u32 v24, 1, v22
	v_mov_b32_e32 v17, v20
	s_delay_alu instid0(VALU_DEP_4) | instskip(SKIP_1) | instid1(VALU_DEP_4)
	v_mad_u64_u32 v[19:20], null, s19, v23, v[2:3]
	v_mad_u64_u32 v[2:3], null, s18, v26, 0
	v_minmax_i32 v32, v24, s8, 0
	v_mad_u64_u32 v[24:25], null, s16, v29, 0
	v_lshlrev_b64 v[38:39], 1, v[16:17]
	v_mad_u64_u32 v[20:21], null, s18, v28, 0
	v_mad_u64_u32 v[16:17], null, s19, v26, v[3:4]
	v_lshlrev_b64 v[40:41], 1, v[18:19]
	v_mov_b32_e32 v17, v25
	s_delay_alu instid0(VALU_DEP_1) | instskip(NEXT) | instid1(VALU_DEP_4)
	v_mad_u64_u32 v[18:19], null, s17, v29, v[17:18]
	v_dual_mov_b32 v3, v16 :: v_dual_add_nc_u32 v22, 2, v22
	s_delay_alu instid0(VALU_DEP_2) | instskip(NEXT) | instid1(VALU_DEP_2)
	v_mov_b32_e32 v25, v18
	v_minmax_i32 v33, v22, s8, 0
	v_lshlrev_b64 v[22:23], 1, v[14:15]
	v_mov_b32_e32 v14, v21
	v_lshlrev_b64 v[2:3], 1, v[2:3]
	v_lshlrev_b64 v[30:31], 1, v[24:25]
	v_mad_u64_u32 v[36:37], null, s16, v33, 0
	s_delay_alu instid0(VALU_DEP_4) | instskip(SKIP_3) | instid1(VALU_DEP_4)
	v_mad_u64_u32 v[26:27], null, s19, v28, v[14:15]
	v_mad_u64_u32 v[28:29], null, s16, v32, 0
	v_add_co_u32 v14, vcc_lo, v22, v38
	v_add_co_ci_u32_e32 v15, vcc_lo, v23, v39, vcc_lo
	v_mov_b32_e32 v21, v26
	v_add_co_u32 v16, vcc_lo, v40, v22
	v_mov_b32_e32 v24, v29
	v_add_co_ci_u32_e32 v17, vcc_lo, v41, v23, vcc_lo
	s_delay_alu instid0(VALU_DEP_4) | instskip(SKIP_1) | instid1(VALU_DEP_4)
	v_lshlrev_b64 v[44:45], 1, v[20:21]
	v_add_co_u32 v18, vcc_lo, v22, v2
	v_mad_u64_u32 v[26:27], null, s17, v32, v[24:25]
	v_add_co_ci_u32_e32 v19, vcc_lo, v23, v3, vcc_lo
	s_delay_alu instid0(VALU_DEP_4)
	v_add_co_u32 v20, vcc_lo, v22, v44
	v_add_co_ci_u32_e32 v21, vcc_lo, v23, v45, vcc_lo
	v_add_co_u32 v22, vcc_lo, v30, v38
	v_dual_mov_b32 v32, v37 :: v_dual_mov_b32 v29, v26
	v_add_co_ci_u32_e32 v23, vcc_lo, v31, v39, vcc_lo
	v_add_co_u32 v24, vcc_lo, v30, v40
	v_add_co_ci_u32_e32 v25, vcc_lo, v31, v41, vcc_lo
	s_delay_alu instid0(VALU_DEP_4)
	v_mad_u64_u32 v[34:35], null, s17, v33, v[32:33]
	v_add_co_u32 v26, vcc_lo, v30, v2
	v_lshlrev_b64 v[42:43], 1, v[28:29]
	v_add_co_ci_u32_e32 v27, vcc_lo, v31, v3, vcc_lo
	v_add_co_u32 v28, vcc_lo, v30, v44
	v_mov_b32_e32 v37, v34
	v_add_co_ci_u32_e32 v29, vcc_lo, v31, v45, vcc_lo
	v_add_co_u32 v30, vcc_lo, v38, v42
	v_add_co_ci_u32_e32 v31, vcc_lo, v39, v43, vcc_lo
	v_add_co_u32 v32, vcc_lo, v40, v42
	;; [unrolled: 2-line block ×3, first 2 shown]
	v_lshlrev_b64 v[46:47], 1, v[36:37]
	v_add_co_ci_u32_e32 v35, vcc_lo, v43, v3, vcc_lo
	v_add_co_u32 v36, vcc_lo, v44, v42
	v_add_co_ci_u32_e32 v37, vcc_lo, v45, v43, vcc_lo
	s_delay_alu instid0(VALU_DEP_4)
	v_add_co_u32 v38, vcc_lo, v38, v46
	v_add_co_ci_u32_e32 v39, vcc_lo, v39, v47, vcc_lo
	v_add_co_u32 v40, vcc_lo, v40, v46
	v_add_co_ci_u32_e32 v41, vcc_lo, v41, v47, vcc_lo
	;; [unrolled: 2-line block ×4, first 2 shown]
	s_lshl_b64 s[8:9], s[20:21], 1
	s_branch .LBB5_5
.LBB5_4:                                ;   in Loop: Header=BB5_5 Depth=1
	v_add_co_u32 v0, vcc_lo, v0, s8
	s_add_i32 s7, s7, 1
	v_add_co_ci_u32_e32 v1, vcc_lo, s9, v1, vcc_lo
	s_add_u32 s2, s2, s12
	s_addc_u32 s3, s3, s13
	s_cmp_lg_u32 s7, s4
	s_cbranch_scc0 .LBB5_7
.LBB5_5:                                ; =>This Loop Header: Depth=1
                                        ;     Child Loop BB5_6 Depth 2
	v_dual_mov_b32 v3, v1 :: v_dual_mov_b32 v2, v0
	s_and_not1_b32 vcc_lo, exec_lo, s30
	s_mov_b64 s[16:17], s[2:3]
	s_mov_b32 s18, s6
	s_cbranch_vccnz .LBB5_4
.LBB5_6:                                ;   Parent Loop BB5_5 Depth=1
                                        ; =>  This Inner Loop Header: Depth=2
	v_add_co_u32 v46, vcc_lo, s16, v14
	v_add_co_ci_u32_e32 v47, vcc_lo, s17, v15, vcc_lo
	v_add_co_u32 v48, vcc_lo, s16, v16
	v_add_co_ci_u32_e32 v49, vcc_lo, s17, v17, vcc_lo
	;; [unrolled: 2-line block ×16, first 2 shown]
	s_clause 0xf
	global_load_u16 v46, v[46:47], off
	global_load_u16 v47, v[48:49], off
	;; [unrolled: 1-line block ×16, first 2 shown]
	s_add_i32 s18, s18, -1
	s_add_u32 s16, s16, s14
	s_addc_u32 s17, s17, s15
	s_cmp_lg_u32 s18, 0
	s_waitcnt vmcnt(14)
	v_cvt_f32_f16_e32 v47, v47
	s_waitcnt vmcnt(10)
	v_cvt_f32_f16_e32 v51, v51
	s_delay_alu instid0(VALU_DEP_2)
	v_mul_f32_e32 v47, v6, v47
	s_waitcnt vmcnt(9)
	v_cvt_f32_f16_e32 v52, v52
	s_waitcnt vmcnt(8)
	v_cvt_f32_f16_e32 v53, v53
	v_mul_f32_e32 v51, v6, v51
	v_fma_mix_f32 v46, v7, v46, v47 op_sel_hi:[0,1,0]
	v_mul_f32_e32 v52, v6, v52
	s_delay_alu instid0(VALU_DEP_3) | instskip(NEXT) | instid1(VALU_DEP_3)
	v_fma_mix_f32 v47, v7, v50, v51 op_sel_hi:[0,1,0]
	v_fma_mix_f32 v46, v8, v48, v46 op_sel_hi:[0,1,0]
	s_waitcnt vmcnt(7)
	s_delay_alu instid0(VALU_DEP_3)
	v_fma_mix_f32 v50, v7, v54, v52 op_sel_hi:[0,1,0]
	s_waitcnt vmcnt(5)
	v_fma_mix_f32 v47, v8, v56, v47 op_sel_hi:[0,1,0]
	v_fma_mix_f32 v46, v9, v49, v46 op_sel_hi:[0,1,0]
	s_waitcnt vmcnt(4)
	v_fma_mix_f32 v48, v8, v57, v50 op_sel_hi:[0,1,0]
	s_waitcnt vmcnt(1)
	v_fma_mix_f32 v47, v9, v60, v47 op_sel_hi:[0,1,0]
	v_mul_f32_e32 v46, v10, v46
	v_mul_f32_e32 v53, v6, v53
	v_fma_mix_f32 v48, v9, v58, v48 op_sel_hi:[0,1,0]
	s_delay_alu instid0(VALU_DEP_3) | instskip(NEXT) | instid1(VALU_DEP_3)
	v_fmac_f32_e32 v46, v11, v47
	v_fma_mix_f32 v51, v7, v55, v53 op_sel_hi:[0,1,0]
	s_delay_alu instid0(VALU_DEP_2) | instskip(NEXT) | instid1(VALU_DEP_2)
	v_fmac_f32_e32 v46, v12, v48
	v_fma_mix_f32 v50, v8, v59, v51 op_sel_hi:[0,1,0]
	s_waitcnt vmcnt(0)
	s_delay_alu instid0(VALU_DEP_1) | instskip(NEXT) | instid1(VALU_DEP_1)
	v_fma_mix_f32 v49, v9, v61, v50 op_sel_hi:[0,1,0]
	v_fma_mixlo_f16 v46, v13, v49, v46
	global_store_b16 v[2:3], v46, off
	v_add_co_u32 v2, vcc_lo, v2, s10
	v_add_co_ci_u32_e32 v3, vcc_lo, s11, v3, vcc_lo
	s_cbranch_scc1 .LBB5_6
	s_branch .LBB5_4
.LBB5_7:
	s_mov_b32 s2, 0
.LBB5_8:
	s_delay_alu instid0(SALU_CYCLE_1)
	s_and_not1_b32 vcc_lo, exec_lo, s2
	s_cbranch_vccnz .LBB5_14
; %bb.9:
	s_and_not1_b32 vcc_lo, exec_lo, s5
	s_cbranch_vccnz .LBB5_14
; %bb.10:
	s_clause 0x1
	s_load_b256 s[8:15], s[0:1], 0x38
	s_load_b256 s[16:23], s[0:1], 0x80
	v_ashrrev_i32_e32 v6, 31, v4
	s_clause 0x1
	s_load_b64 s[2:3], s[0:1], 0x10
	s_load_b64 s[0:1], s[0:1], 0x58
	v_ashrrev_i32_e32 v8, 31, v5
	s_cmp_gt_i32 s6, 0
	s_mov_b32 s5, 0
	s_cselect_b32 s7, -1, 0
	s_waitcnt lgkmcnt(0)
	v_mul_lo_u32 v10, s13, v4
	v_mul_lo_u32 v11, s12, v6
	v_mad_u64_u32 v[0:1], null, s12, v4, 0
	v_mul_lo_u32 v14, s21, v4
	v_mul_lo_u32 v15, s20, v6
	v_mad_u64_u32 v[6:7], null, s20, v4, 0
	;; [unrolled: 3-line block ×4, first 2 shown]
	v_add3_u32 v1, v1, v11, v10
	v_add3_u32 v7, v7, v15, v14
	;; [unrolled: 1-line block ×3, first 2 shown]
	s_lshl_b64 s[8:9], s[8:9], 1
	s_lshl_b64 s[10:11], s[10:11], 1
	v_lshlrev_b64 v[0:1], 1, v[0:1]
	v_add3_u32 v9, v9, v16, v4
	v_lshlrev_b64 v[4:5], 1, v[6:7]
	v_lshlrev_b64 v[2:3], 1, v[2:3]
	s_delay_alu instid0(VALU_DEP_4)
	v_add_co_u32 v0, vcc_lo, s2, v0
	v_add_co_ci_u32_e32 v1, vcc_lo, s3, v1, vcc_lo
	v_lshlrev_b64 v[6:7], 1, v[8:9]
	v_add_co_u32 v4, vcc_lo, s0, v4
	v_add_co_ci_u32_e32 v5, vcc_lo, s1, v5, vcc_lo
	v_add_co_u32 v0, vcc_lo, v0, v2
	v_add_co_ci_u32_e32 v1, vcc_lo, v1, v3, vcc_lo
	s_delay_alu instid0(VALU_DEP_4) | instskip(NEXT) | instid1(VALU_DEP_4)
	v_add_co_u32 v2, vcc_lo, v4, v6
	v_add_co_ci_u32_e32 v3, vcc_lo, v5, v7, vcc_lo
	s_lshl_b64 s[0:1], s[16:17], 1
	s_lshl_b64 s[2:3], s[18:19], 1
	s_set_inst_prefetch_distance 0x1
	s_branch .LBB5_12
	.p2align	6
.LBB5_11:                               ;   in Loop: Header=BB5_12 Depth=1
	v_add_co_u32 v2, vcc_lo, v2, s0
	v_add_co_ci_u32_e32 v3, vcc_lo, s1, v3, vcc_lo
	v_add_co_u32 v0, vcc_lo, v0, s8
	v_add_co_ci_u32_e32 v1, vcc_lo, s9, v1, vcc_lo
	s_add_i32 s5, s5, 1
	s_delay_alu instid0(SALU_CYCLE_1)
	s_cmp_eq_u32 s5, s4
	s_cbranch_scc1 .LBB5_14
.LBB5_12:                               ; =>This Loop Header: Depth=1
                                        ;     Child Loop BB5_13 Depth 2
	s_delay_alu instid0(VALU_DEP_1)
	v_dual_mov_b32 v5, v1 :: v_dual_mov_b32 v4, v0
	v_dual_mov_b32 v7, v3 :: v_dual_mov_b32 v6, v2
	s_and_not1_b32 vcc_lo, exec_lo, s7
	s_mov_b32 s12, s6
	s_cbranch_vccnz .LBB5_11
.LBB5_13:                               ;   Parent Loop BB5_12 Depth=1
                                        ; =>  This Inner Loop Header: Depth=2
	global_load_u16 v8, v[4:5], off
	v_add_co_u32 v4, vcc_lo, v4, s10
	v_add_co_ci_u32_e32 v5, vcc_lo, s11, v5, vcc_lo
	s_add_i32 s12, s12, -1
	s_delay_alu instid0(SALU_CYCLE_1)
	s_cmp_eq_u32 s12, 0
	s_waitcnt vmcnt(0)
	global_store_b16 v[6:7], v8, off
	v_add_co_u32 v6, vcc_lo, v6, s2
	v_add_co_ci_u32_e32 v7, vcc_lo, s3, v7, vcc_lo
	s_cbranch_scc0 .LBB5_13
	s_branch .LBB5_11
.LBB5_14:
	s_set_inst_prefetch_distance 0x2
	s_nop 0
	s_sendmsg sendmsg(MSG_DEALLOC_VGPRS)
	s_endpgm
	.section	.rodata,"a",@progbits
	.p2align	6, 0x0
	.amdhsa_kernel _ZN2at6native12_GLOBAL__N_128upsample_bicubic2d_out_frameIN3c104HalfEfEEviT0_S5_bN5torch10headeronly6detail27GenericPackedTensorAccessorINS8_14TensorAccessorINS3_8ArrayRefIlEEKT_Lm3ENS7_16DefaultPtrTraitsElEENS_6detail16IndexBoundsCheckILm4ElEESE_Lm4ESF_lEENS9_INSA_ISC_SD_Lm3ESF_lEESJ_SD_Lm4ESF_lEE
		.amdhsa_group_segment_fixed_size 0
		.amdhsa_private_segment_fixed_size 0
		.amdhsa_kernarg_size 416
		.amdhsa_user_sgpr_count 15
		.amdhsa_user_sgpr_dispatch_ptr 0
		.amdhsa_user_sgpr_queue_ptr 0
		.amdhsa_user_sgpr_kernarg_segment_ptr 1
		.amdhsa_user_sgpr_dispatch_id 0
		.amdhsa_user_sgpr_private_segment_size 0
		.amdhsa_wavefront_size32 1
		.amdhsa_uses_dynamic_stack 0
		.amdhsa_enable_private_segment 0
		.amdhsa_system_sgpr_workgroup_id_x 1
		.amdhsa_system_sgpr_workgroup_id_y 0
		.amdhsa_system_sgpr_workgroup_id_z 0
		.amdhsa_system_sgpr_workgroup_info 0
		.amdhsa_system_vgpr_workitem_id 0
		.amdhsa_next_free_vgpr 78
		.amdhsa_next_free_sgpr 31
		.amdhsa_reserve_vcc 1
		.amdhsa_float_round_mode_32 0
		.amdhsa_float_round_mode_16_64 0
		.amdhsa_float_denorm_mode_32 3
		.amdhsa_float_denorm_mode_16_64 3
		.amdhsa_dx10_clamp 1
		.amdhsa_ieee_mode 1
		.amdhsa_fp16_overflow 0
		.amdhsa_workgroup_processor_mode 1
		.amdhsa_memory_ordered 1
		.amdhsa_forward_progress 0
		.amdhsa_shared_vgpr_count 0
		.amdhsa_exception_fp_ieee_invalid_op 0
		.amdhsa_exception_fp_denorm_src 0
		.amdhsa_exception_fp_ieee_div_zero 0
		.amdhsa_exception_fp_ieee_overflow 0
		.amdhsa_exception_fp_ieee_underflow 0
		.amdhsa_exception_fp_ieee_inexact 0
		.amdhsa_exception_int_div_zero 0
	.end_amdhsa_kernel
	.section	.text._ZN2at6native12_GLOBAL__N_128upsample_bicubic2d_out_frameIN3c104HalfEfEEviT0_S5_bN5torch10headeronly6detail27GenericPackedTensorAccessorINS8_14TensorAccessorINS3_8ArrayRefIlEEKT_Lm3ENS7_16DefaultPtrTraitsElEENS_6detail16IndexBoundsCheckILm4ElEESE_Lm4ESF_lEENS9_INSA_ISC_SD_Lm3ESF_lEESJ_SD_Lm4ESF_lEE,"axG",@progbits,_ZN2at6native12_GLOBAL__N_128upsample_bicubic2d_out_frameIN3c104HalfEfEEviT0_S5_bN5torch10headeronly6detail27GenericPackedTensorAccessorINS8_14TensorAccessorINS3_8ArrayRefIlEEKT_Lm3ENS7_16DefaultPtrTraitsElEENS_6detail16IndexBoundsCheckILm4ElEESE_Lm4ESF_lEENS9_INSA_ISC_SD_Lm3ESF_lEESJ_SD_Lm4ESF_lEE,comdat
.Lfunc_end5:
	.size	_ZN2at6native12_GLOBAL__N_128upsample_bicubic2d_out_frameIN3c104HalfEfEEviT0_S5_bN5torch10headeronly6detail27GenericPackedTensorAccessorINS8_14TensorAccessorINS3_8ArrayRefIlEEKT_Lm3ENS7_16DefaultPtrTraitsElEENS_6detail16IndexBoundsCheckILm4ElEESE_Lm4ESF_lEENS9_INSA_ISC_SD_Lm3ESF_lEESJ_SD_Lm4ESF_lEE, .Lfunc_end5-_ZN2at6native12_GLOBAL__N_128upsample_bicubic2d_out_frameIN3c104HalfEfEEviT0_S5_bN5torch10headeronly6detail27GenericPackedTensorAccessorINS8_14TensorAccessorINS3_8ArrayRefIlEEKT_Lm3ENS7_16DefaultPtrTraitsElEENS_6detail16IndexBoundsCheckILm4ElEESE_Lm4ESF_lEENS9_INSA_ISC_SD_Lm3ESF_lEESJ_SD_Lm4ESF_lEE
                                        ; -- End function
	.section	.AMDGPU.csdata,"",@progbits
; Kernel info:
; codeLenInByte = 2528
; NumSgprs: 33
; NumVgprs: 78
; ScratchSize: 0
; MemoryBound: 0
; FloatMode: 240
; IeeeMode: 1
; LDSByteSize: 0 bytes/workgroup (compile time only)
; SGPRBlocks: 4
; VGPRBlocks: 9
; NumSGPRsForWavesPerEU: 33
; NumVGPRsForWavesPerEU: 78
; Occupancy: 16
; WaveLimiterHint : 1
; COMPUTE_PGM_RSRC2:SCRATCH_EN: 0
; COMPUTE_PGM_RSRC2:USER_SGPR: 15
; COMPUTE_PGM_RSRC2:TRAP_HANDLER: 0
; COMPUTE_PGM_RSRC2:TGID_X_EN: 1
; COMPUTE_PGM_RSRC2:TGID_Y_EN: 0
; COMPUTE_PGM_RSRC2:TGID_Z_EN: 0
; COMPUTE_PGM_RSRC2:TIDIG_COMP_CNT: 0
	.section	.text._ZN2at6native12_GLOBAL__N_137upsample_bicubic2d_out_frame_parallelIN3c108BFloat16EfEEviT0_S5_bN5torch10headeronly6detail27GenericPackedTensorAccessorINS8_14TensorAccessorINS3_8ArrayRefIlEEKT_Lm3ENS7_16DefaultPtrTraitsElEENS_6detail16IndexBoundsCheckILm4ElEESE_Lm4ESF_lEENS9_INSA_ISC_SD_Lm3ESF_lEESJ_SD_Lm4ESF_lEE,"axG",@progbits,_ZN2at6native12_GLOBAL__N_137upsample_bicubic2d_out_frame_parallelIN3c108BFloat16EfEEviT0_S5_bN5torch10headeronly6detail27GenericPackedTensorAccessorINS8_14TensorAccessorINS3_8ArrayRefIlEEKT_Lm3ENS7_16DefaultPtrTraitsElEENS_6detail16IndexBoundsCheckILm4ElEESE_Lm4ESF_lEENS9_INSA_ISC_SD_Lm3ESF_lEESJ_SD_Lm4ESF_lEE,comdat
	.globl	_ZN2at6native12_GLOBAL__N_137upsample_bicubic2d_out_frame_parallelIN3c108BFloat16EfEEviT0_S5_bN5torch10headeronly6detail27GenericPackedTensorAccessorINS8_14TensorAccessorINS3_8ArrayRefIlEEKT_Lm3ENS7_16DefaultPtrTraitsElEENS_6detail16IndexBoundsCheckILm4ElEESE_Lm4ESF_lEENS9_INSA_ISC_SD_Lm3ESF_lEESJ_SD_Lm4ESF_lEE ; -- Begin function _ZN2at6native12_GLOBAL__N_137upsample_bicubic2d_out_frame_parallelIN3c108BFloat16EfEEviT0_S5_bN5torch10headeronly6detail27GenericPackedTensorAccessorINS8_14TensorAccessorINS3_8ArrayRefIlEEKT_Lm3ENS7_16DefaultPtrTraitsElEENS_6detail16IndexBoundsCheckILm4ElEESE_Lm4ESF_lEENS9_INSA_ISC_SD_Lm3ESF_lEESJ_SD_Lm4ESF_lEE
	.p2align	8
	.type	_ZN2at6native12_GLOBAL__N_137upsample_bicubic2d_out_frame_parallelIN3c108BFloat16EfEEviT0_S5_bN5torch10headeronly6detail27GenericPackedTensorAccessorINS8_14TensorAccessorINS3_8ArrayRefIlEEKT_Lm3ENS7_16DefaultPtrTraitsElEENS_6detail16IndexBoundsCheckILm4ElEESE_Lm4ESF_lEENS9_INSA_ISC_SD_Lm3ESF_lEESJ_SD_Lm4ESF_lEE,@function
_ZN2at6native12_GLOBAL__N_137upsample_bicubic2d_out_frame_parallelIN3c108BFloat16EfEEviT0_S5_bN5torch10headeronly6detail27GenericPackedTensorAccessorINS8_14TensorAccessorINS3_8ArrayRefIlEEKT_Lm3ENS7_16DefaultPtrTraitsElEENS_6detail16IndexBoundsCheckILm4ElEESE_Lm4ESF_lEENS9_INSA_ISC_SD_Lm3ESF_lEESJ_SD_Lm4ESF_lEE: ; @_ZN2at6native12_GLOBAL__N_137upsample_bicubic2d_out_frame_parallelIN3c108BFloat16EfEEviT0_S5_bN5torch10headeronly6detail27GenericPackedTensorAccessorINS8_14TensorAccessorINS3_8ArrayRefIlEEKT_Lm3ENS7_16DefaultPtrTraitsElEENS_6detail16IndexBoundsCheckILm4ElEESE_Lm4ESF_lEENS9_INSA_ISC_SD_Lm3ESF_lEESJ_SD_Lm4ESF_lEE
; %bb.0:
	s_clause 0x1
	s_load_b32 s2, s[0:1], 0xac
	s_load_b128 s[4:7], s[0:1], 0x0
	s_add_u32 s34, s0, 0xa0
	s_addc_u32 s35, s1, 0
	s_waitcnt lgkmcnt(0)
	s_and_b32 s2, s2, 0xffff
	s_delay_alu instid0(SALU_CYCLE_1) | instskip(SKIP_1) | instid1(VALU_DEP_1)
	v_mad_u64_u32 v[1:2], null, s14, s2, v[0:1]
	s_mov_b32 s2, exec_lo
	v_cmpx_gt_i32_e64 s4, v1
	s_cbranch_execz .LBB6_10
; %bb.1:
	s_clause 0x1
	s_load_b128 s[8:11], s[0:1], 0x70
	s_load_b32 s4, s[0:1], 0x18
	v_sub_nc_u32_e32 v3, 0, v1
	s_delay_alu instid0(VALU_DEP_1) | instskip(SKIP_2) | instid1(SALU_CYCLE_1)
	v_max_i32_e32 v3, v1, v3
	s_waitcnt lgkmcnt(0)
	s_abs_i32 s2, s10
	v_cvt_f32_u32_e32 v0, s2
	s_sub_i32 s3, 0, s2
	s_delay_alu instid0(VALU_DEP_1) | instskip(SKIP_2) | instid1(VALU_DEP_1)
	v_rcp_iflag_f32_e32 v0, v0
	s_waitcnt_depctr 0xfff
	v_mul_f32_e32 v0, 0x4f7ffffe, v0
	v_cvt_u32_f32_e32 v0, v0
	s_delay_alu instid0(VALU_DEP_1) | instskip(SKIP_3) | instid1(VALU_DEP_1)
	v_mul_lo_u32 v2, s3, v0
	s_clause 0x1
	s_load_b128 s[28:31], s[0:1], 0x20
	s_load_b32 s3, s[0:1], 0x30
	v_mul_hi_u32 v2, v0, v2
	s_delay_alu instid0(VALU_DEP_1) | instskip(SKIP_2) | instid1(VALU_DEP_1)
	v_add_nc_u32_e32 v0, v0, v2
	s_waitcnt lgkmcnt(0)
	s_cmp_lg_u32 s30, s8
	v_mul_hi_u32 v0, v3, v0
	s_mul_i32 s29, s28, s4
	s_mov_b32 s4, -1
	s_delay_alu instid0(VALU_DEP_1) | instskip(NEXT) | instid1(VALU_DEP_1)
	v_mul_lo_u32 v2, v0, s2
	v_sub_nc_u32_e32 v2, v3, v2
	v_add_nc_u32_e32 v3, 1, v0
	s_delay_alu instid0(VALU_DEP_2) | instskip(SKIP_1) | instid1(VALU_DEP_3)
	v_subrev_nc_u32_e32 v4, s2, v2
	v_cmp_le_u32_e32 vcc_lo, s2, v2
	v_cndmask_b32_e32 v0, v0, v3, vcc_lo
	s_delay_alu instid0(VALU_DEP_3) | instskip(SKIP_1) | instid1(VALU_DEP_3)
	v_cndmask_b32_e32 v2, v2, v4, vcc_lo
	v_xor_b32_e32 v3, s10, v1
	v_add_nc_u32_e32 v4, 1, v0
	s_delay_alu instid0(VALU_DEP_3) | instskip(NEXT) | instid1(VALU_DEP_3)
	v_cmp_le_u32_e32 vcc_lo, s2, v2
	v_ashrrev_i32_e32 v3, 31, v3
	s_cselect_b32 s2, -1, 0
	s_cmp_lg_u32 s3, s10
	v_cndmask_b32_e32 v0, v0, v4, vcc_lo
	s_cselect_b32 s8, -1, 0
	s_delay_alu instid0(SALU_CYCLE_1) | instskip(SKIP_1) | instid1(VALU_DEP_1)
	s_or_b32 s2, s8, s2
	s_cmp_lt_i32 s15, s29
	v_xor_b32_e32 v0, v0, v3
	s_cselect_b32 s31, -1, 0
	s_and_b32 vcc_lo, exec_lo, s2
	v_cndmask_b32_e64 v2, 0, 1, s31
	s_delay_alu instid0(VALU_DEP_2) | instskip(NEXT) | instid1(VALU_DEP_2)
	v_sub_nc_u32_e32 v20, v0, v3
	v_cmp_ne_u32_e64 s2, 1, v2
	s_delay_alu instid0(VALU_DEP_2) | instskip(NEXT) | instid1(VALU_DEP_1)
	v_mul_lo_u32 v0, v20, s10
	v_sub_nc_u32_e32 v21, v1, v0
	s_cbranch_vccz .LBB6_6
; %bb.2:
	s_delay_alu instid0(VALU_DEP_3)
	s_and_b32 vcc_lo, exec_lo, s2
	s_cbranch_vccnz .LBB6_5
; %bb.3:
	v_cvt_f32_i32_e32 v0, v20
	v_cvt_f32_i32_e32 v1, v21
	s_bitcmp1_b32 s7, 0
	s_load_b256 s[20:27], s[0:1], 0x38
	s_cselect_b32 vcc_lo, -1, 0
	s_delay_alu instid0(VALU_DEP_1) | instskip(SKIP_2) | instid1(VALU_DEP_2)
	v_dual_add_f32 v2, 0.5, v0 :: v_dual_add_f32 v3, 0.5, v1
	v_dual_mul_f32 v0, s5, v0 :: v_dual_mul_f32 v1, s6, v1
	s_add_i32 s3, s3, -1
	v_fma_f32 v2, v2, s5, -0.5
	s_delay_alu instid0(VALU_DEP_3)
	v_fma_f32 v3, v3, s6, -0.5
	s_mov_b32 s2, 0xbf400000
	s_mov_b32 s4, 0x3fa00000
	s_load_b256 s[36:43], s[0:1], 0x80
	v_cndmask_b32_e32 v14, v2, v0, vcc_lo
	v_cndmask_b32_e32 v0, v3, v1, vcc_lo
	s_add_i32 s5, s30, -1
	s_clause 0x1
	s_load_b64 s[18:19], s[0:1], 0x10
	s_load_b64 s[44:45], s[0:1], 0x58
	s_sub_i32 s30, 0, s28
	s_mov_b32 s33, s15
	v_floor_f32_e32 v1, v0
	s_delay_alu instid0(VALU_DEP_1) | instskip(NEXT) | instid1(VALU_DEP_1)
	v_cvt_i32_f32_e32 v1, v1
	v_add_nc_u32_e32 v3, -1, v1
	v_floor_f32_e32 v2, v14
	v_minmax_i32 v12, v1, s3, 0
	s_waitcnt lgkmcnt(0)
	v_mul_lo_u32 v32, s43, v21
	v_mul_lo_u32 v30, s41, v20
	v_minmax_i32 v13, v3, s3, 0
	v_cvt_i32_f32_e32 v15, v2
	v_cvt_f32_i32_e32 v2, v1
	v_mad_u64_u32 v[4:5], null, s26, v12, 0
	s_delay_alu instid0(VALU_DEP_2) | instskip(SKIP_2) | instid1(VALU_DEP_4)
	v_sub_f32_e32 v16, v0, v2
	v_mad_u64_u32 v[2:3], null, s26, v13, 0
	v_add_nc_u32_e32 v6, 1, v1
	v_dual_mov_b32 v0, v5 :: v_dual_add_nc_u32 v1, 2, v1
	v_cvt_f32_i32_e32 v5, v15
	s_delay_alu instid0(VALU_DEP_2) | instskip(SKIP_2) | instid1(VALU_DEP_3)
	v_minmax_i32 v18, v1, s3, 0
	v_mov_b32_e32 v1, v3
	v_minmax_i32 v17, v6, s3, 0
	v_mad_u64_u32 v[8:9], null, s26, v18, 0
	s_delay_alu instid0(VALU_DEP_2) | instskip(NEXT) | instid1(VALU_DEP_4)
	v_mad_u64_u32 v[6:7], null, s26, v17, 0
	v_mad_u64_u32 v[10:11], null, s27, v12, v[0:1]
	;; [unrolled: 1-line block ×3, first 2 shown]
	s_delay_alu instid0(VALU_DEP_4) | instskip(NEXT) | instid1(VALU_DEP_4)
	v_mov_b32_e32 v3, v9
	v_dual_add_f32 v19, 1.0, v16 :: v_dual_mov_b32 v0, v7
	s_abs_i32 s26, s28
	s_delay_alu instid0(SALU_CYCLE_1) | instskip(NEXT) | instid1(VALU_DEP_1)
	s_sub_i32 s3, 0, s26
	v_mad_u64_u32 v[12:13], null, s27, v17, v[0:1]
	v_mad_u64_u32 v[0:1], null, s27, v18, v[3:4]
	v_add_nc_u32_e32 v1, -1, v15
	v_dual_sub_f32 v13, v14, v5 :: v_dual_sub_f32 v14, 1.0, v16
	v_fmaak_f32 v17, s2, v19, 0x40700000
	v_mov_b32_e32 v5, v10
	v_mov_b32_e32 v3, v11
	v_dual_mov_b32 v9, v0 :: v_dual_fmaak_f32 v0, s4, v16, 0xc0100000
	s_delay_alu instid0(VALU_DEP_4) | instskip(SKIP_2) | instid1(VALU_DEP_4)
	v_dual_add_f32 v10, 1.0, v14 :: v_dual_fmaak_f32 v11, v19, v17, 0xc0c00000
	v_sub_f32_e32 v28, 1.0, v13
	v_ashrrev_i32_e32 v18, 31, v21
	v_mul_f32_e32 v0, v16, v0
	s_delay_alu instid0(VALU_DEP_4) | instskip(SKIP_2) | instid1(VALU_DEP_4)
	v_dual_mov_b32 v7, v12 :: v_dual_fmaak_f32 v22, v19, v11, 0x40400000
	v_fmaak_f32 v12, s4, v14, 0xc0100000
	v_fmaak_f32 v17, s2, v10, 0x40700000
	v_fma_f32 v23, v16, v0, 1.0
	v_mul_lo_u32 v33, s42, v18
	v_mad_u64_u32 v[18:19], null, s42, v21, 0
	v_dual_mul_f32 v11, v14, v12 :: v_dual_add_f32 v12, 1.0, v13
	v_ashrrev_i32_e32 v16, 31, v20
	v_minmax_i32 v34, v1, s5, 0
	v_lshlrev_b64 v[4:5], 1, v[4:5]
	s_delay_alu instid0(VALU_DEP_4)
	v_fma_f32 v24, v14, v11, 1.0
	v_fmaak_f32 v14, s4, v13, 0xc0100000
	v_fmaak_f32 v11, s2, v12, 0x40700000
	v_add3_u32 v19, v19, v33, v32
	v_minmax_i32 v33, v15, s5, 0
	v_mul_lo_u32 v31, s40, v16
	v_mul_f32_e32 v14, v13, v14
	v_dual_fmaak_f32 v0, v10, v17, 0xc0c00000 :: v_dual_fmaak_f32 v11, v12, v11, 0xc0c00000
	v_mad_u64_u32 v[16:17], null, s40, v20, 0
	s_delay_alu instid0(VALU_DEP_3) | instskip(NEXT) | instid1(VALU_DEP_3)
	v_fma_f32 v27, v13, v14, 1.0
	v_fmaak_f32 v25, v10, v0, 0x40400000
	v_add_f32_e32 v10, 1.0, v28
	v_dual_fmaak_f32 v0, s4, v28, 0xc0100000 :: v_dual_add_nc_u32 v13, 2, v15
	v_lshlrev_b64 v[6:7], 1, v[6:7]
	v_add3_u32 v17, v17, v31, v30
	s_delay_alu instid0(VALU_DEP_4) | instskip(NEXT) | instid1(VALU_DEP_4)
	v_fmaak_f32 v26, s2, v10, 0x40700000
	v_mul_f32_e32 v0, v28, v0
	v_minmax_i32 v36, v13, s5, 0
	v_lshlrev_b64 v[8:9], 1, v[8:9]
	v_lshlrev_b64 v[16:17], 1, v[16:17]
	v_fmaak_f32 v29, v10, v26, 0xc0c00000
	v_fmaak_f32 v26, v12, v11, 0x40400000
	v_cvt_f32_u32_e32 v12, s26
	v_fma_f32 v28, v28, v0, 1.0
	v_mad_u64_u32 v[0:1], null, s24, v34, 0
	v_dual_fmaak_f32 v29, v10, v29, 0x40400000 :: v_dual_add_nc_u32 v10, 1, v15
	s_delay_alu instid0(VALU_DEP_4) | instskip(SKIP_2) | instid1(VALU_DEP_3)
	v_rcp_iflag_f32_e32 v32, v12
	v_mad_u64_u32 v[14:15], null, s24, v36, 0
	v_lshlrev_b64 v[18:19], 1, v[18:19]
	v_minmax_i32 v35, v10, s5, 0
	v_mad_u64_u32 v[10:11], null, s24, v33, 0
	v_mad_u64_u32 v[30:31], null, s25, v34, v[1:2]
	s_delay_alu instid0(VALU_DEP_3) | instskip(NEXT) | instid1(TRANS32_DEP_1)
	v_mad_u64_u32 v[12:13], null, s24, v35, 0
	v_mul_f32_e32 v34, 0x4f7ffffe, v32
	s_load_b32 s24, s[34:35], 0x8
	s_delay_alu instid0(VALU_DEP_2) | instskip(NEXT) | instid1(VALU_DEP_3)
	v_mov_b32_e32 v1, v13
	v_mad_u64_u32 v[31:32], null, s25, v33, v[11:12]
	v_mov_b32_e32 v11, v15
	s_delay_alu instid0(VALU_DEP_3) | instskip(SKIP_2) | instid1(VALU_DEP_4)
	v_mad_u64_u32 v[32:33], null, s25, v35, v[1:2]
	v_mov_b32_e32 v1, v30
	v_cvt_u32_f32_e32 v13, v34
	v_mad_u64_u32 v[33:34], null, s25, v36, v[11:12]
	v_mov_b32_e32 v11, v31
	s_delay_alu instid0(VALU_DEP_4) | instskip(NEXT) | instid1(VALU_DEP_4)
	v_lshlrev_b64 v[0:1], 1, v[0:1]
	v_readfirstlane_b32 s2, v13
	v_mov_b32_e32 v13, v32
	v_lshlrev_b64 v[2:3], 1, v[2:3]
	v_lshlrev_b64 v[10:11], 1, v[10:11]
	v_mov_b32_e32 v15, v33
	s_mul_i32 s3, s3, s2
	v_lshlrev_b64 v[12:13], 1, v[12:13]
	s_mul_hi_u32 s3, s2, s3
	s_ashr_i32 s25, s28, 31
	v_lshlrev_b64 v[14:15], 1, v[14:15]
	s_add_i32 s27, s2, s3
.LBB6_4:                                ; =>This Inner Loop Header: Depth=1
	s_abs_i32 s2, s33
	s_ashr_i32 s3, s33, 31
	s_mul_hi_u32 s4, s2, s27
	s_xor_b32 s3, s3, s25
	s_mul_i32 s5, s4, s26
	s_add_i32 s6, s4, 1
	s_sub_i32 s2, s2, s5
	s_delay_alu instid0(SALU_CYCLE_1)
	s_sub_i32 s5, s2, s26
	s_cmp_ge_u32 s2, s26
	s_cselect_b32 s4, s6, s4
	s_cselect_b32 s2, s5, s2
	s_add_i32 s5, s4, 1
	s_cmp_ge_u32 s2, s26
	s_cselect_b32 s2, s5, s4
	s_delay_alu instid0(SALU_CYCLE_1) | instskip(NEXT) | instid1(SALU_CYCLE_1)
	s_xor_b32 s2, s2, s3
	s_sub_i32 s41, s2, s3
	s_delay_alu instid0(SALU_CYCLE_1)
	s_ashr_i32 s42, s41, 31
	s_mul_i32 s3, s30, s41
	s_mul_hi_u32 s4, s20, s41
	s_mul_i32 s6, s20, s42
	s_mul_i32 s5, s21, s41
	s_add_i32 s40, s33, s3
	s_add_i32 s3, s4, s6
	s_mul_i32 s2, s20, s41
	s_add_i32 s3, s3, s5
	s_mul_hi_u32 s6, s22, s40
	s_lshl_b64 s[2:3], s[2:3], 1
	s_mul_i32 s7, s23, s40
	s_add_u32 s8, s18, s2
	s_addc_u32 s9, s19, s3
	s_ashr_i32 s43, s40, 31
	s_mul_i32 s4, s22, s40
	s_mul_i32 s2, s22, s43
	s_delay_alu instid0(SALU_CYCLE_1) | instskip(NEXT) | instid1(SALU_CYCLE_1)
	s_add_i32 s2, s6, s2
	s_add_i32 s5, s2, s7
	s_delay_alu instid0(SALU_CYCLE_1) | instskip(NEXT) | instid1(SALU_CYCLE_1)
	s_lshl_b64 s[2:3], s[4:5], 1
	s_add_u32 s4, s8, s2
	s_addc_u32 s5, s9, s3
	v_add_co_u32 v31, vcc_lo, s4, v10
	v_add_co_u32 v33, s2, s4, v12
	v_add_co_u32 v35, s3, s4, v14
	;; [unrolled: 1-line block ×3, first 2 shown]
	s_delay_alu instid0(VALU_DEP_1)
	v_add_co_ci_u32_e64 v39, s4, s5, v1, s4
	v_add_co_ci_u32_e32 v43, vcc_lo, s5, v11, vcc_lo
	v_add_co_ci_u32_e64 v51, vcc_lo, s5, v13, s2
	v_add_co_ci_u32_e64 v59, vcc_lo, s5, v15, s3
	v_add_co_u32 v60, s17, v37, v2
	v_add_co_u32 v30, vcc_lo, v37, v4
	v_add_co_u32 v32, s2, v37, v6
	v_add_co_ci_u32_e64 v61, s17, v39, v3, s17
	v_add_co_u32 v34, s3, v37, v8
	v_add_co_u32 v36, s4, v31, v2
	;; [unrolled: 1-line block ×5, first 2 shown]
	v_add_co_ci_u32_e32 v31, vcc_lo, v39, v5, vcc_lo
	v_add_co_u32 v44, s8, v33, v2
	v_add_co_u32 v46, s9, v33, v4
	;; [unrolled: 1-line block ×4, first 2 shown]
	v_add_co_ci_u32_e64 v33, vcc_lo, v39, v7, s2
	v_add_co_u32 v52, s12, v35, v2
	v_add_co_u32 v54, s13, v35, v4
	;; [unrolled: 1-line block ×4, first 2 shown]
	v_add_co_ci_u32_e64 v35, vcc_lo, v39, v9, s3
	v_add_co_ci_u32_e64 v37, vcc_lo, v43, v3, s4
	;; [unrolled: 1-line block ×13, first 2 shown]
	s_clause 0xf
	global_load_u16 v60, v[60:61], off
	global_load_u16 v30, v[30:31], off
	;; [unrolled: 1-line block ×16, first 2 shown]
	s_mul_hi_u32 s3, s36, s41
	s_mul_i32 s6, s36, s42
	s_mul_i32 s5, s37, s41
	s_add_i32 s3, s3, s6
	s_mul_i32 s2, s36, s41
	s_add_i32 s3, s3, s5
	s_mul_hi_u32 s7, s38, s40
	s_lshl_b64 s[2:3], s[2:3], 1
	s_mul_i32 s9, s38, s43
	s_add_u32 s6, s44, s2
	s_mul_i32 s8, s39, s40
	s_addc_u32 s10, s45, s3
	s_add_i32 s2, s7, s9
	s_mul_i32 s4, s38, s40
	s_add_i32 s5, s2, s8
	s_delay_alu instid0(SALU_CYCLE_1) | instskip(NEXT) | instid1(SALU_CYCLE_1)
	s_lshl_b64 s[2:3], s[4:5], 1
	s_add_u32 s2, s6, s2
	s_addc_u32 s3, s10, s3
	s_waitcnt lgkmcnt(0)
	s_add_i32 s33, s33, s24
	s_delay_alu instid0(SALU_CYCLE_1)
	s_cmp_lt_i32 s33, s29
	s_waitcnt vmcnt(6)
	v_lshlrev_b32_e32 v38, 16, v38
	v_lshlrev_b32_e32 v33, 16, v33
	s_waitcnt vmcnt(4)
	v_lshlrev_b32_e32 v40, 16, v40
	s_waitcnt vmcnt(2)
	;; [unrolled: 2-line block ×3, first 2 shown]
	v_dual_mul_f32 v38, v23, v38 :: v_dual_lshlrev_b32 v43, 16, v43
	v_lshlrev_b32_e32 v34, 16, v34
	v_lshlrev_b32_e32 v31, 16, v31
	v_lshlrev_b32_e32 v32, 16, v32
	s_delay_alu instid0(VALU_DEP_3) | instskip(NEXT) | instid1(VALU_DEP_1)
	v_dual_mul_f32 v34, v23, v34 :: v_dual_lshlrev_b32 v39, 16, v39
	v_fmac_f32_e32 v34, v22, v33
	v_lshlrev_b32_e32 v41, 16, v41
	v_lshlrev_b32_e32 v30, 16, v30
	s_delay_alu instid0(VALU_DEP_1) | instskip(NEXT) | instid1(VALU_DEP_1)
	v_dual_mul_f32 v30, v23, v30 :: v_dual_lshlrev_b32 v45, 16, v60
	v_dual_fmac_f32 v30, v22, v45 :: v_dual_lshlrev_b32 v35, 16, v35
	s_delay_alu instid0(VALU_DEP_1) | instskip(NEXT) | instid1(VALU_DEP_2)
	v_dual_fmac_f32 v34, v24, v35 :: v_dual_lshlrev_b32 v37, 16, v37
	v_dual_fmac_f32 v30, v24, v31 :: v_dual_mul_f32 v31, v23, v42
	s_delay_alu instid0(VALU_DEP_2) | instskip(NEXT) | instid1(VALU_DEP_2)
	v_fmac_f32_e32 v38, v22, v37
	v_dual_fmac_f32 v30, v25, v32 :: v_dual_fmac_f32 v31, v22, v41
	s_delay_alu instid0(VALU_DEP_2) | instskip(NEXT) | instid1(VALU_DEP_2)
	v_fmac_f32_e32 v38, v24, v39
	v_mul_f32_e32 v32, v26, v30
	s_waitcnt vmcnt(0)
	s_delay_alu instid0(VALU_DEP_3) | instskip(SKIP_2) | instid1(VALU_DEP_3)
	v_dual_fmac_f32 v31, v24, v43 :: v_dual_lshlrev_b32 v30, 16, v44
	v_lshlrev_b32_e32 v36, 16, v36
	v_fmac_f32_e32 v38, v25, v40
	v_fmac_f32_e32 v31, v25, v30
	s_delay_alu instid0(VALU_DEP_3) | instskip(NEXT) | instid1(VALU_DEP_1)
	v_fmac_f32_e32 v34, v25, v36
	v_fmac_f32_e32 v32, v27, v34
	s_delay_alu instid0(VALU_DEP_1) | instskip(NEXT) | instid1(VALU_DEP_1)
	v_fmac_f32_e32 v32, v28, v38
	v_fmac_f32_e32 v32, v29, v31
	v_add_co_u32 v31, vcc_lo, s2, v16
	v_add_co_ci_u32_e32 v33, vcc_lo, s3, v17, vcc_lo
	s_delay_alu instid0(VALU_DEP_3) | instskip(NEXT) | instid1(VALU_DEP_1)
	v_bfe_u32 v30, v32, 16, 1
	v_add3_u32 v30, v32, v30, 0x7fff
	s_delay_alu instid0(VALU_DEP_1) | instskip(SKIP_3) | instid1(VALU_DEP_4)
	v_lshrrev_b32_e32 v34, 16, v30
	v_add_co_u32 v30, vcc_lo, v31, v18
	v_add_co_ci_u32_e32 v31, vcc_lo, v33, v19, vcc_lo
	v_cmp_o_f32_e32 vcc_lo, v32, v32
	v_cndmask_b32_e32 v32, 0x7fc0, v34, vcc_lo
	global_store_b16 v[30:31], v32, off
	s_cbranch_scc1 .LBB6_4
.LBB6_5:
	s_mov_b32 s4, 0
.LBB6_6:
	s_delay_alu instid0(SALU_CYCLE_1)
	s_and_not1_b32 vcc_lo, exec_lo, s4
	s_cbranch_vccnz .LBB6_10
; %bb.7:
	s_and_not1_b32 vcc_lo, exec_lo, s31
	s_cbranch_vccnz .LBB6_10
; %bb.8:
	s_abs_i32 s12, s28
	s_load_b256 s[4:11], s[0:1], 0x38
	v_cvt_f32_u32_e32 v0, s12
	s_load_b256 s[16:23], s[0:1], 0x80
	v_ashrrev_i32_e32 v4, 31, v20
	v_ashrrev_i32_e32 v6, 31, v21
	s_load_b64 s[2:3], s[0:1], 0x10
	v_rcp_iflag_f32_e32 v0, v0
	s_load_b64 s[0:1], s[0:1], 0x58
	s_waitcnt_depctr 0xfff
	v_mul_f32_e32 v7, 0x4f7ffffe, v0
	s_waitcnt lgkmcnt(0)
	v_mul_lo_u32 v9, s8, v4
	v_mad_u64_u32 v[0:1], null, s8, v20, 0
	s_load_b32 s8, s[34:35], 0x8
	v_mul_lo_u32 v8, s9, v20
	v_mul_lo_u32 v10, s11, v21
	;; [unrolled: 1-line block ×3, first 2 shown]
	v_mad_u64_u32 v[2:3], null, s10, v21, 0
	v_mul_lo_u32 v12, s21, v20
	v_mul_lo_u32 v13, s20, v4
	v_mad_u64_u32 v[4:5], null, s20, v20, 0
	v_mul_lo_u32 v14, s23, v21
	v_mul_lo_u32 v15, s22, v6
	v_cvt_u32_f32_e32 v16, v7
	v_mad_u64_u32 v[6:7], null, s22, v21, 0
	v_add3_u32 v1, v1, v9, v8
	v_add3_u32 v3, v3, v11, v10
	s_delay_alu instid0(VALU_DEP_4)
	v_readfirstlane_b32 s10, v16
	v_add3_u32 v5, v5, v13, v12
	s_sub_i32 s9, 0, s12
	v_lshlrev_b64 v[0:1], 1, v[0:1]
	v_add3_u32 v7, v7, v15, v14
	s_mul_i32 s9, s9, s10
	v_lshlrev_b64 v[2:3], 1, v[2:3]
	v_lshlrev_b64 v[4:5], 1, v[4:5]
	s_mul_hi_u32 s11, s10, s9
	v_lshlrev_b64 v[6:7], 1, v[6:7]
	s_ashr_i32 s9, s28, 31
	s_add_i32 s10, s10, s11
	s_sub_i32 s11, 0, s28
.LBB6_9:                                ; =>This Inner Loop Header: Depth=1
	s_abs_i32 s13, s15
	s_ashr_i32 s14, s15, 31
	s_mul_hi_u32 s20, s13, s10
	s_xor_b32 s14, s14, s9
	s_mul_i32 s21, s20, s12
	s_add_i32 s22, s20, 1
	s_sub_i32 s13, s13, s21
	s_delay_alu instid0(SALU_CYCLE_1)
	s_sub_i32 s21, s13, s12
	s_cmp_ge_u32 s13, s12
	s_cselect_b32 s20, s22, s20
	s_cselect_b32 s13, s21, s13
	s_add_i32 s21, s20, 1
	s_cmp_ge_u32 s13, s12
	s_cselect_b32 s13, s21, s20
	s_delay_alu instid0(SALU_CYCLE_1) | instskip(NEXT) | instid1(SALU_CYCLE_1)
	s_xor_b32 s13, s13, s14
	s_sub_i32 s13, s13, s14
	s_delay_alu instid0(SALU_CYCLE_1)
	s_ashr_i32 s24, s13, 31
	s_mul_hi_u32 s21, s4, s13
	s_mul_i32 s22, s4, s24
	s_mul_i32 s23, s5, s13
	s_add_i32 s21, s21, s22
	s_mul_i32 s20, s4, s13
	s_add_i32 s21, s21, s23
	s_mul_i32 s14, s11, s13
	s_lshl_b64 s[20:21], s[20:21], 1
	s_add_i32 s14, s15, s14
	s_add_u32 s27, s2, s20
	s_addc_u32 s28, s3, s21
	s_ashr_i32 s30, s14, 31
	s_mul_hi_u32 s25, s6, s14
	s_mul_i32 s20, s6, s30
	s_mul_i32 s26, s7, s14
	s_add_i32 s20, s25, s20
	s_mul_i32 s22, s6, s14
	s_add_i32 s23, s20, s26
	s_mul_i32 s25, s19, s14
	s_lshl_b64 s[20:21], s[22:23], 1
	s_mul_i32 s23, s17, s13
	s_add_u32 s20, s27, s20
	s_addc_u32 s21, s28, s21
	v_add_co_u32 v8, vcc_lo, s20, v0
	v_add_co_ci_u32_e32 v9, vcc_lo, s21, v1, vcc_lo
	s_mul_hi_u32 s21, s16, s13
	s_delay_alu instid0(VALU_DEP_2) | instskip(NEXT) | instid1(VALU_DEP_2)
	v_add_co_u32 v8, vcc_lo, v8, v2
	v_add_co_ci_u32_e32 v9, vcc_lo, v9, v3, vcc_lo
	s_mul_i32 s20, s16, s13
	s_mul_i32 s13, s16, s24
	s_mul_hi_u32 s24, s18, s14
	global_load_u16 v10, v[8:9], off
	s_add_i32 s13, s21, s13
	s_mul_i32 s22, s18, s14
	s_add_i32 s21, s13, s23
	s_mul_i32 s14, s18, s30
	s_lshl_b64 s[20:21], s[20:21], 1
	s_delay_alu instid0(SALU_CYCLE_1) | instskip(SKIP_2) | instid1(SALU_CYCLE_1)
	s_add_u32 s13, s0, s20
	s_addc_u32 s26, s1, s21
	s_add_i32 s14, s24, s14
	s_add_i32 s23, s14, s25
	s_delay_alu instid0(SALU_CYCLE_1) | instskip(NEXT) | instid1(SALU_CYCLE_1)
	s_lshl_b64 s[20:21], s[22:23], 1
	s_add_u32 s13, s13, s20
	s_addc_u32 s14, s26, s21
	v_add_co_u32 v8, vcc_lo, s13, v4
	v_add_co_ci_u32_e32 v9, vcc_lo, s14, v5, vcc_lo
	s_waitcnt lgkmcnt(0)
	s_add_i32 s15, s15, s8
	s_delay_alu instid0(VALU_DEP_2) | instskip(NEXT) | instid1(VALU_DEP_2)
	v_add_co_u32 v8, vcc_lo, v8, v6
	v_add_co_ci_u32_e32 v9, vcc_lo, v9, v7, vcc_lo
	s_cmp_ge_i32 s15, s29
	s_waitcnt vmcnt(0)
	global_store_b16 v[8:9], v10, off
	s_cbranch_scc0 .LBB6_9
.LBB6_10:
	s_nop 0
	s_sendmsg sendmsg(MSG_DEALLOC_VGPRS)
	s_endpgm
	.section	.rodata,"a",@progbits
	.p2align	6, 0x0
	.amdhsa_kernel _ZN2at6native12_GLOBAL__N_137upsample_bicubic2d_out_frame_parallelIN3c108BFloat16EfEEviT0_S5_bN5torch10headeronly6detail27GenericPackedTensorAccessorINS8_14TensorAccessorINS3_8ArrayRefIlEEKT_Lm3ENS7_16DefaultPtrTraitsElEENS_6detail16IndexBoundsCheckILm4ElEESE_Lm4ESF_lEENS9_INSA_ISC_SD_Lm3ESF_lEESJ_SD_Lm4ESF_lEE
		.amdhsa_group_segment_fixed_size 0
		.amdhsa_private_segment_fixed_size 0
		.amdhsa_kernarg_size 416
		.amdhsa_user_sgpr_count 14
		.amdhsa_user_sgpr_dispatch_ptr 0
		.amdhsa_user_sgpr_queue_ptr 0
		.amdhsa_user_sgpr_kernarg_segment_ptr 1
		.amdhsa_user_sgpr_dispatch_id 0
		.amdhsa_user_sgpr_private_segment_size 0
		.amdhsa_wavefront_size32 1
		.amdhsa_uses_dynamic_stack 0
		.amdhsa_enable_private_segment 0
		.amdhsa_system_sgpr_workgroup_id_x 1
		.amdhsa_system_sgpr_workgroup_id_y 0
		.amdhsa_system_sgpr_workgroup_id_z 1
		.amdhsa_system_sgpr_workgroup_info 0
		.amdhsa_system_vgpr_workitem_id 0
		.amdhsa_next_free_vgpr 62
		.amdhsa_next_free_sgpr 46
		.amdhsa_reserve_vcc 1
		.amdhsa_float_round_mode_32 0
		.amdhsa_float_round_mode_16_64 0
		.amdhsa_float_denorm_mode_32 3
		.amdhsa_float_denorm_mode_16_64 3
		.amdhsa_dx10_clamp 1
		.amdhsa_ieee_mode 1
		.amdhsa_fp16_overflow 0
		.amdhsa_workgroup_processor_mode 1
		.amdhsa_memory_ordered 1
		.amdhsa_forward_progress 0
		.amdhsa_shared_vgpr_count 0
		.amdhsa_exception_fp_ieee_invalid_op 0
		.amdhsa_exception_fp_denorm_src 0
		.amdhsa_exception_fp_ieee_div_zero 0
		.amdhsa_exception_fp_ieee_overflow 0
		.amdhsa_exception_fp_ieee_underflow 0
		.amdhsa_exception_fp_ieee_inexact 0
		.amdhsa_exception_int_div_zero 0
	.end_amdhsa_kernel
	.section	.text._ZN2at6native12_GLOBAL__N_137upsample_bicubic2d_out_frame_parallelIN3c108BFloat16EfEEviT0_S5_bN5torch10headeronly6detail27GenericPackedTensorAccessorINS8_14TensorAccessorINS3_8ArrayRefIlEEKT_Lm3ENS7_16DefaultPtrTraitsElEENS_6detail16IndexBoundsCheckILm4ElEESE_Lm4ESF_lEENS9_INSA_ISC_SD_Lm3ESF_lEESJ_SD_Lm4ESF_lEE,"axG",@progbits,_ZN2at6native12_GLOBAL__N_137upsample_bicubic2d_out_frame_parallelIN3c108BFloat16EfEEviT0_S5_bN5torch10headeronly6detail27GenericPackedTensorAccessorINS8_14TensorAccessorINS3_8ArrayRefIlEEKT_Lm3ENS7_16DefaultPtrTraitsElEENS_6detail16IndexBoundsCheckILm4ElEESE_Lm4ESF_lEENS9_INSA_ISC_SD_Lm3ESF_lEESJ_SD_Lm4ESF_lEE,comdat
.Lfunc_end6:
	.size	_ZN2at6native12_GLOBAL__N_137upsample_bicubic2d_out_frame_parallelIN3c108BFloat16EfEEviT0_S5_bN5torch10headeronly6detail27GenericPackedTensorAccessorINS8_14TensorAccessorINS3_8ArrayRefIlEEKT_Lm3ENS7_16DefaultPtrTraitsElEENS_6detail16IndexBoundsCheckILm4ElEESE_Lm4ESF_lEENS9_INSA_ISC_SD_Lm3ESF_lEESJ_SD_Lm4ESF_lEE, .Lfunc_end6-_ZN2at6native12_GLOBAL__N_137upsample_bicubic2d_out_frame_parallelIN3c108BFloat16EfEEviT0_S5_bN5torch10headeronly6detail27GenericPackedTensorAccessorINS8_14TensorAccessorINS3_8ArrayRefIlEEKT_Lm3ENS7_16DefaultPtrTraitsElEENS_6detail16IndexBoundsCheckILm4ElEESE_Lm4ESF_lEENS9_INSA_ISC_SD_Lm3ESF_lEESJ_SD_Lm4ESF_lEE
                                        ; -- End function
	.section	.AMDGPU.csdata,"",@progbits
; Kernel info:
; codeLenInByte = 2916
; NumSgprs: 48
; NumVgprs: 62
; ScratchSize: 0
; MemoryBound: 0
; FloatMode: 240
; IeeeMode: 1
; LDSByteSize: 0 bytes/workgroup (compile time only)
; SGPRBlocks: 5
; VGPRBlocks: 7
; NumSGPRsForWavesPerEU: 48
; NumVGPRsForWavesPerEU: 62
; Occupancy: 16
; WaveLimiterHint : 1
; COMPUTE_PGM_RSRC2:SCRATCH_EN: 0
; COMPUTE_PGM_RSRC2:USER_SGPR: 14
; COMPUTE_PGM_RSRC2:TRAP_HANDLER: 0
; COMPUTE_PGM_RSRC2:TGID_X_EN: 1
; COMPUTE_PGM_RSRC2:TGID_Y_EN: 0
; COMPUTE_PGM_RSRC2:TGID_Z_EN: 1
; COMPUTE_PGM_RSRC2:TIDIG_COMP_CNT: 0
	.section	.text._ZN2at6native12_GLOBAL__N_128upsample_bicubic2d_out_frameIN3c108BFloat16EfEEviT0_S5_bN5torch10headeronly6detail27GenericPackedTensorAccessorINS8_14TensorAccessorINS3_8ArrayRefIlEEKT_Lm3ENS7_16DefaultPtrTraitsElEENS_6detail16IndexBoundsCheckILm4ElEESE_Lm4ESF_lEENS9_INSA_ISC_SD_Lm3ESF_lEESJ_SD_Lm4ESF_lEE,"axG",@progbits,_ZN2at6native12_GLOBAL__N_128upsample_bicubic2d_out_frameIN3c108BFloat16EfEEviT0_S5_bN5torch10headeronly6detail27GenericPackedTensorAccessorINS8_14TensorAccessorINS3_8ArrayRefIlEEKT_Lm3ENS7_16DefaultPtrTraitsElEENS_6detail16IndexBoundsCheckILm4ElEESE_Lm4ESF_lEENS9_INSA_ISC_SD_Lm3ESF_lEESJ_SD_Lm4ESF_lEE,comdat
	.globl	_ZN2at6native12_GLOBAL__N_128upsample_bicubic2d_out_frameIN3c108BFloat16EfEEviT0_S5_bN5torch10headeronly6detail27GenericPackedTensorAccessorINS8_14TensorAccessorINS3_8ArrayRefIlEEKT_Lm3ENS7_16DefaultPtrTraitsElEENS_6detail16IndexBoundsCheckILm4ElEESE_Lm4ESF_lEENS9_INSA_ISC_SD_Lm3ESF_lEESJ_SD_Lm4ESF_lEE ; -- Begin function _ZN2at6native12_GLOBAL__N_128upsample_bicubic2d_out_frameIN3c108BFloat16EfEEviT0_S5_bN5torch10headeronly6detail27GenericPackedTensorAccessorINS8_14TensorAccessorINS3_8ArrayRefIlEEKT_Lm3ENS7_16DefaultPtrTraitsElEENS_6detail16IndexBoundsCheckILm4ElEESE_Lm4ESF_lEENS9_INSA_ISC_SD_Lm3ESF_lEESJ_SD_Lm4ESF_lEE
	.p2align	8
	.type	_ZN2at6native12_GLOBAL__N_128upsample_bicubic2d_out_frameIN3c108BFloat16EfEEviT0_S5_bN5torch10headeronly6detail27GenericPackedTensorAccessorINS8_14TensorAccessorINS3_8ArrayRefIlEEKT_Lm3ENS7_16DefaultPtrTraitsElEENS_6detail16IndexBoundsCheckILm4ElEESE_Lm4ESF_lEENS9_INSA_ISC_SD_Lm3ESF_lEESJ_SD_Lm4ESF_lEE,@function
_ZN2at6native12_GLOBAL__N_128upsample_bicubic2d_out_frameIN3c108BFloat16EfEEviT0_S5_bN5torch10headeronly6detail27GenericPackedTensorAccessorINS8_14TensorAccessorINS3_8ArrayRefIlEEKT_Lm3ENS7_16DefaultPtrTraitsElEENS_6detail16IndexBoundsCheckILm4ElEESE_Lm4ESF_lEENS9_INSA_ISC_SD_Lm3ESF_lEESJ_SD_Lm4ESF_lEE: ; @_ZN2at6native12_GLOBAL__N_128upsample_bicubic2d_out_frameIN3c108BFloat16EfEEviT0_S5_bN5torch10headeronly6detail27GenericPackedTensorAccessorINS8_14TensorAccessorINS3_8ArrayRefIlEEKT_Lm3ENS7_16DefaultPtrTraitsElEENS_6detail16IndexBoundsCheckILm4ElEESE_Lm4ESF_lEENS9_INSA_ISC_SD_Lm3ESF_lEESJ_SD_Lm4ESF_lEE
; %bb.0:
	s_clause 0x1
	s_load_b32 s2, s[0:1], 0xac
	s_load_b128 s[16:19], s[0:1], 0x0
	s_waitcnt lgkmcnt(0)
	s_and_b32 s2, s2, 0xffff
	s_delay_alu instid0(SALU_CYCLE_1) | instskip(SKIP_1) | instid1(VALU_DEP_1)
	v_mad_u64_u32 v[1:2], null, s15, s2, v[0:1]
	s_mov_b32 s2, exec_lo
	v_cmpx_gt_i32_e64 s16, v1
	s_cbranch_execz .LBB7_14
; %bb.1:
	s_load_b128 s[12:15], s[0:1], 0x70
	v_sub_nc_u32_e32 v3, 0, v1
	s_load_b256 s[4:11], s[0:1], 0x18
	s_delay_alu instid0(VALU_DEP_1) | instskip(SKIP_2) | instid1(SALU_CYCLE_1)
	v_max_i32_e32 v3, v1, v3
	s_waitcnt lgkmcnt(0)
	s_abs_i32 s2, s14
	v_cvt_f32_u32_e32 v0, s2
	s_sub_i32 s3, 0, s2
	s_cmp_lg_u32 s8, s12
	s_delay_alu instid0(VALU_DEP_1) | instskip(SKIP_2) | instid1(VALU_DEP_1)
	v_rcp_iflag_f32_e32 v0, v0
	s_waitcnt_depctr 0xfff
	v_mul_f32_e32 v0, 0x4f7ffffe, v0
	v_cvt_u32_f32_e32 v0, v0
	s_delay_alu instid0(VALU_DEP_1) | instskip(NEXT) | instid1(VALU_DEP_1)
	v_mul_lo_u32 v2, s3, v0
	v_mul_hi_u32 v2, v0, v2
	s_delay_alu instid0(VALU_DEP_1) | instskip(NEXT) | instid1(VALU_DEP_1)
	v_add_nc_u32_e32 v0, v0, v2
	v_mul_hi_u32 v0, v3, v0
	s_delay_alu instid0(VALU_DEP_1) | instskip(NEXT) | instid1(VALU_DEP_1)
	v_mul_lo_u32 v2, v0, s2
	v_sub_nc_u32_e32 v2, v3, v2
	v_add_nc_u32_e32 v3, 1, v0
	s_delay_alu instid0(VALU_DEP_2) | instskip(SKIP_1) | instid1(VALU_DEP_3)
	v_subrev_nc_u32_e32 v4, s2, v2
	v_cmp_le_u32_e32 vcc_lo, s2, v2
	v_cndmask_b32_e32 v0, v0, v3, vcc_lo
	s_delay_alu instid0(VALU_DEP_3) | instskip(SKIP_1) | instid1(VALU_DEP_3)
	v_cndmask_b32_e32 v2, v2, v4, vcc_lo
	v_xor_b32_e32 v3, s14, v1
	v_add_nc_u32_e32 v4, 1, v0
	s_delay_alu instid0(VALU_DEP_3) | instskip(NEXT) | instid1(VALU_DEP_3)
	v_cmp_le_u32_e32 vcc_lo, s2, v2
	v_ashrrev_i32_e32 v3, 31, v3
	s_cselect_b32 s2, -1, 0
	s_cmp_lg_u32 s10, s14
	v_cndmask_b32_e32 v0, v0, v4, vcc_lo
	s_cselect_b32 s3, -1, 0
	s_delay_alu instid0(SALU_CYCLE_1) | instskip(SKIP_1) | instid1(VALU_DEP_1)
	s_or_b32 s2, s3, s2
	s_cmp_gt_i32 s4, 0
	v_xor_b32_e32 v0, v0, v3
	s_cselect_b32 s5, -1, 0
	s_and_b32 vcc_lo, exec_lo, s2
	s_mov_b32 s2, -1
	s_delay_alu instid0(VALU_DEP_1) | instskip(NEXT) | instid1(VALU_DEP_1)
	v_sub_nc_u32_e32 v4, v0, v3
	v_mul_lo_u32 v0, v4, s14
	s_delay_alu instid0(VALU_DEP_1)
	v_sub_nc_u32_e32 v5, v1, v0
	s_cbranch_vccz .LBB7_8
; %bb.2:
	s_and_not1_b32 vcc_lo, exec_lo, s5
	s_cbranch_vccnz .LBB7_7
; %bb.3:
	v_cvt_f32_i32_e32 v0, v4
	v_cvt_f32_i32_e32 v1, v5
	s_bitcmp1_b32 s19, 0
	s_mov_b32 s11, 0x3fa00000
	s_cselect_b32 vcc_lo, -1, 0
	s_delay_alu instid0(VALU_DEP_1) | instskip(SKIP_2) | instid1(VALU_DEP_2)
	v_dual_add_f32 v2, 0.5, v0 :: v_dual_add_f32 v3, 0.5, v1
	v_dual_mul_f32 v0, s17, v0 :: v_dual_mul_f32 v1, s18, v1
	s_cmp_gt_i32 s6, 0
	v_fma_f32 v2, v2, s17, -0.5
	s_delay_alu instid0(VALU_DEP_3) | instskip(SKIP_3) | instid1(VALU_DEP_1)
	v_fma_f32 v3, v3, s18, -0.5
	s_cselect_b32 s30, -1, 0
	s_add_i32 s10, s10, -1
	s_mov_b32 s9, 0xbf400000
	v_dual_cndmask_b32 v0, v2, v0 :: v_dual_cndmask_b32 v1, v3, v1
	s_clause 0x2
	s_load_b256 s[20:27], s[0:1], 0x80
	s_load_b256 s[12:19], s[0:1], 0x38
	s_load_b64 s[28:29], s[0:1], 0x58
	s_add_i32 s8, s8, -1
	v_floor_f32_e32 v2, v0
	v_floor_f32_e32 v3, v1
	s_load_b64 s[2:3], s[0:1], 0x10
	s_mov_b32 s7, 0
	s_delay_alu instid0(VALU_DEP_2) | instskip(NEXT) | instid1(VALU_DEP_2)
	v_cvt_i32_f32_e32 v22, v2
	v_cvt_i32_f32_e32 v2, v3
	s_delay_alu instid0(VALU_DEP_2) | instskip(NEXT) | instid1(VALU_DEP_2)
	v_cvt_f32_i32_e32 v3, v22
	v_cvt_f32_i32_e32 v6, v2
	v_add_nc_u32_e32 v11, -1, v22
	v_minmax_i32 v23, v2, s10, 0
	s_delay_alu instid0(VALU_DEP_3)
	v_dual_sub_f32 v12, v0, v3 :: v_dual_sub_f32 v1, v1, v6
	s_waitcnt lgkmcnt(0)
	v_mul_lo_u32 v17, s25, v4
	v_minmax_i32 v25, v11, s8, 0
	s_lshl_b64 s[12:13], s[12:13], 1
	v_dual_add_f32 v10, 1.0, v12 :: v_dual_add_nc_u32 v7, -1, v2
	v_add_f32_e32 v0, 1.0, v1
	v_dual_sub_f32 v3, 1.0, v1 :: v_dual_add_nc_u32 v8, 1, v2
	v_add_nc_u32_e32 v2, 2, v2
	s_delay_alu instid0(VALU_DEP_4) | instskip(SKIP_1) | instid1(VALU_DEP_4)
	v_minmax_i32 v24, v7, s10, 0
	v_fmaak_f32 v16, s9, v10, 0x40700000
	v_minmax_i32 v26, v8, s10, 0
	v_fmaak_f32 v7, s11, v3, 0xc0100000
	v_minmax_i32 v28, v2, s10, 0
	v_dual_fmaak_f32 v2, s11, v1, 0xc0100000 :: v_dual_add_f32 v9, 1.0, v3
	v_fmaak_f32 v6, s9, v0, 0x40700000
	v_sub_f32_e32 v13, 1.0, v12
	s_lshl_b64 s[14:15], s[14:15], 1
	s_delay_alu instid0(VALU_DEP_3) | instskip(NEXT) | instid1(VALU_DEP_3)
	v_dual_mul_f32 v2, v1, v2 :: v_dual_fmaak_f32 v15, s9, v9, 0x40700000
	v_fmaak_f32 v8, v0, v6, 0xc0c00000
	v_mul_f32_e32 v14, v3, v7
	s_delay_alu instid0(VALU_DEP_3) | instskip(NEXT) | instid1(VALU_DEP_3)
	v_fma_f32 v6, v1, v2, 1.0
	v_fmaak_f32 v7, v0, v8, 0x40400000
	s_delay_alu instid0(VALU_DEP_3) | instskip(SKIP_4) | instid1(VALU_DEP_4)
	v_fma_f32 v8, v3, v14, 1.0
	v_fmaak_f32 v14, s11, v12, 0xc0100000
	v_dual_fmaak_f32 v2, v9, v15, 0xc0c00000 :: v_dual_fmaak_f32 v3, v10, v16, 0xc0c00000
	v_fmaak_f32 v15, s11, v13, 0xc0100000
	v_ashrrev_i32_e32 v0, 31, v4
	v_dual_mul_f32 v19, v12, v14 :: v_dual_add_f32 v16, 1.0, v13
	s_delay_alu instid0(VALU_DEP_4) | instskip(SKIP_1) | instid1(VALU_DEP_3)
	v_fmaak_f32 v9, v9, v2, 0x40400000
	s_lshl_b64 s[10:11], s[22:23], 1
	v_mul_lo_u32 v18, s24, v0
	v_mad_u64_u32 v[0:1], null, s24, v4, 0
	v_fmaak_f32 v2, s9, v16, 0x40700000
	v_mul_f32_e32 v20, v13, v15
	v_mad_u64_u32 v[14:15], null, s16, v25, 0
	v_fma_f32 v11, v12, v19, 1.0
	s_delay_alu instid0(VALU_DEP_4)
	v_fmaak_f32 v21, v16, v2, 0xc0c00000
	v_fmaak_f32 v10, v10, v3, 0x40400000
	v_ashrrev_i32_e32 v3, 31, v5
	v_add3_u32 v1, v1, v18, v17
	v_mul_lo_u32 v18, s27, v5
	v_fma_f32 v12, v13, v20, 1.0
	v_fmaak_f32 v13, v16, v21, 0x40400000
	v_mul_lo_u32 v27, s26, v3
	v_mad_u64_u32 v[2:3], null, s26, v5, 0
	v_lshlrev_b64 v[0:1], 1, v[0:1]
	v_mad_u64_u32 v[16:17], null, s18, v24, 0
	s_delay_alu instid0(VALU_DEP_3) | instskip(NEXT) | instid1(VALU_DEP_3)
	v_add3_u32 v3, v3, v27, v18
	v_add_co_u32 v27, vcc_lo, s28, v0
	s_delay_alu instid0(VALU_DEP_4) | instskip(NEXT) | instid1(VALU_DEP_3)
	v_add_co_ci_u32_e32 v29, vcc_lo, s29, v1, vcc_lo
	v_lshlrev_b64 v[0:1], 1, v[2:3]
	v_mov_b32_e32 v2, v17
	v_mad_u64_u32 v[17:18], null, s17, v25, v[15:16]
	v_mad_u64_u32 v[18:19], null, s18, v23, 0
	s_delay_alu instid0(VALU_DEP_3) | instskip(SKIP_2) | instid1(VALU_DEP_4)
	v_mad_u64_u32 v[20:21], null, s19, v24, v[2:3]
	v_add_co_u32 v0, vcc_lo, v27, v0
	v_add_co_ci_u32_e32 v1, vcc_lo, v29, v1, vcc_lo
	v_mov_b32_e32 v2, v19
	v_minmax_i32 v29, v22, s8, 0
	v_dual_mov_b32 v15, v17 :: v_dual_add_nc_u32 v24, 1, v22
	v_mov_b32_e32 v17, v20
	s_delay_alu instid0(VALU_DEP_4) | instskip(SKIP_1) | instid1(VALU_DEP_4)
	v_mad_u64_u32 v[19:20], null, s19, v23, v[2:3]
	v_mad_u64_u32 v[2:3], null, s18, v26, 0
	v_minmax_i32 v32, v24, s8, 0
	v_mad_u64_u32 v[24:25], null, s16, v29, 0
	v_lshlrev_b64 v[38:39], 1, v[16:17]
	v_mad_u64_u32 v[20:21], null, s18, v28, 0
	v_mad_u64_u32 v[16:17], null, s19, v26, v[3:4]
	v_lshlrev_b64 v[40:41], 1, v[18:19]
	v_mov_b32_e32 v17, v25
	s_delay_alu instid0(VALU_DEP_1) | instskip(NEXT) | instid1(VALU_DEP_4)
	v_mad_u64_u32 v[18:19], null, s17, v29, v[17:18]
	v_dual_mov_b32 v3, v16 :: v_dual_add_nc_u32 v22, 2, v22
	s_delay_alu instid0(VALU_DEP_2) | instskip(NEXT) | instid1(VALU_DEP_2)
	v_mov_b32_e32 v25, v18
	v_minmax_i32 v33, v22, s8, 0
	v_lshlrev_b64 v[22:23], 1, v[14:15]
	v_mov_b32_e32 v14, v21
	v_lshlrev_b64 v[2:3], 1, v[2:3]
	v_lshlrev_b64 v[30:31], 1, v[24:25]
	v_mad_u64_u32 v[36:37], null, s16, v33, 0
	s_delay_alu instid0(VALU_DEP_4) | instskip(SKIP_3) | instid1(VALU_DEP_4)
	v_mad_u64_u32 v[26:27], null, s19, v28, v[14:15]
	v_mad_u64_u32 v[28:29], null, s16, v32, 0
	v_add_co_u32 v14, vcc_lo, v22, v38
	v_add_co_ci_u32_e32 v15, vcc_lo, v23, v39, vcc_lo
	v_mov_b32_e32 v21, v26
	v_add_co_u32 v16, vcc_lo, v40, v22
	v_mov_b32_e32 v24, v29
	v_add_co_ci_u32_e32 v17, vcc_lo, v41, v23, vcc_lo
	s_delay_alu instid0(VALU_DEP_4) | instskip(SKIP_1) | instid1(VALU_DEP_4)
	v_lshlrev_b64 v[44:45], 1, v[20:21]
	v_add_co_u32 v18, vcc_lo, v22, v2
	v_mad_u64_u32 v[26:27], null, s17, v32, v[24:25]
	v_add_co_ci_u32_e32 v19, vcc_lo, v23, v3, vcc_lo
	s_delay_alu instid0(VALU_DEP_4)
	v_add_co_u32 v20, vcc_lo, v22, v44
	v_add_co_ci_u32_e32 v21, vcc_lo, v23, v45, vcc_lo
	v_add_co_u32 v22, vcc_lo, v30, v38
	v_dual_mov_b32 v32, v37 :: v_dual_mov_b32 v29, v26
	v_add_co_ci_u32_e32 v23, vcc_lo, v31, v39, vcc_lo
	v_add_co_u32 v24, vcc_lo, v30, v40
	v_add_co_ci_u32_e32 v25, vcc_lo, v31, v41, vcc_lo
	s_delay_alu instid0(VALU_DEP_4)
	v_mad_u64_u32 v[34:35], null, s17, v33, v[32:33]
	v_add_co_u32 v26, vcc_lo, v30, v2
	v_lshlrev_b64 v[42:43], 1, v[28:29]
	v_add_co_ci_u32_e32 v27, vcc_lo, v31, v3, vcc_lo
	v_add_co_u32 v28, vcc_lo, v30, v44
	v_mov_b32_e32 v37, v34
	v_add_co_ci_u32_e32 v29, vcc_lo, v31, v45, vcc_lo
	v_add_co_u32 v30, vcc_lo, v38, v42
	v_add_co_ci_u32_e32 v31, vcc_lo, v39, v43, vcc_lo
	v_add_co_u32 v32, vcc_lo, v40, v42
	;; [unrolled: 2-line block ×3, first 2 shown]
	v_lshlrev_b64 v[46:47], 1, v[36:37]
	v_add_co_ci_u32_e32 v35, vcc_lo, v43, v3, vcc_lo
	v_add_co_u32 v36, vcc_lo, v44, v42
	v_add_co_ci_u32_e32 v37, vcc_lo, v45, v43, vcc_lo
	s_delay_alu instid0(VALU_DEP_4)
	v_add_co_u32 v38, vcc_lo, v38, v46
	v_add_co_ci_u32_e32 v39, vcc_lo, v39, v47, vcc_lo
	v_add_co_u32 v40, vcc_lo, v40, v46
	v_add_co_ci_u32_e32 v41, vcc_lo, v41, v47, vcc_lo
	v_add_co_u32 v42, vcc_lo, v46, v2
	v_add_co_ci_u32_e32 v43, vcc_lo, v47, v3, vcc_lo
	v_add_co_u32 v44, vcc_lo, v46, v44
	v_add_co_ci_u32_e32 v45, vcc_lo, v47, v45, vcc_lo
	s_lshl_b64 s[8:9], s[20:21], 1
	s_branch .LBB7_5
.LBB7_4:                                ;   in Loop: Header=BB7_5 Depth=1
	v_add_co_u32 v0, vcc_lo, v0, s8
	s_add_i32 s7, s7, 1
	v_add_co_ci_u32_e32 v1, vcc_lo, s9, v1, vcc_lo
	s_add_u32 s2, s2, s12
	s_addc_u32 s3, s3, s13
	s_cmp_lg_u32 s7, s4
	s_cbranch_scc0 .LBB7_7
.LBB7_5:                                ; =>This Loop Header: Depth=1
                                        ;     Child Loop BB7_6 Depth 2
	v_dual_mov_b32 v3, v1 :: v_dual_mov_b32 v2, v0
	s_and_not1_b32 vcc_lo, exec_lo, s30
	s_mov_b64 s[16:17], s[2:3]
	s_mov_b32 s18, s6
	s_cbranch_vccnz .LBB7_4
.LBB7_6:                                ;   Parent Loop BB7_5 Depth=1
                                        ; =>  This Inner Loop Header: Depth=2
	v_add_co_u32 v46, vcc_lo, s16, v14
	v_add_co_ci_u32_e32 v47, vcc_lo, s17, v15, vcc_lo
	v_add_co_u32 v48, vcc_lo, s16, v16
	v_add_co_ci_u32_e32 v49, vcc_lo, s17, v17, vcc_lo
	;; [unrolled: 2-line block ×16, first 2 shown]
	s_clause 0xf
	global_load_u16 v46, v[46:47], off
	global_load_u16 v47, v[48:49], off
	;; [unrolled: 1-line block ×16, first 2 shown]
	s_add_i32 s18, s18, -1
	s_add_u32 s16, s16, s14
	s_addc_u32 s17, s17, s15
	s_cmp_lg_u32 s18, 0
	s_waitcnt vmcnt(14)
	v_lshlrev_b32_e32 v47, 16, v47
	v_lshlrev_b32_e32 v46, 16, v46
	s_waitcnt vmcnt(12)
	v_lshlrev_b32_e32 v49, 16, v49
	s_waitcnt vmcnt(10)
	v_lshlrev_b32_e32 v51, 16, v51
	v_dual_mul_f32 v47, v6, v47 :: v_dual_lshlrev_b32 v48, 16, v48
	s_waitcnt vmcnt(6)
	v_lshlrev_b32_e32 v55, 16, v55
	s_waitcnt vmcnt(5)
	v_dual_mul_f32 v51, v6, v51 :: v_dual_lshlrev_b32 v56, 16, v56
	v_fmac_f32_e32 v47, v7, v46
	s_delay_alu instid0(VALU_DEP_3)
	v_dual_mul_f32 v55, v6, v55 :: v_dual_lshlrev_b32 v50, 16, v50
	v_lshlrev_b32_e32 v54, 16, v54
	s_waitcnt vmcnt(2)
	v_lshlrev_b32_e32 v59, 16, v59
	v_fmac_f32_e32 v47, v8, v48
	v_lshlrev_b32_e32 v52, 16, v52
	s_waitcnt vmcnt(1)
	v_dual_fmac_f32 v51, v7, v50 :: v_dual_lshlrev_b32 v60, 16, v60
	v_mul_f32_e32 v59, v6, v59
	v_dual_fmac_f32 v47, v9, v49 :: v_dual_lshlrev_b32 v58, 16, v58
	v_fmac_f32_e32 v55, v7, v54
	s_delay_alu instid0(VALU_DEP_2) | instskip(SKIP_1) | instid1(VALU_DEP_3)
	v_dual_fmac_f32 v51, v8, v52 :: v_dual_mul_f32 v46, v10, v47
	v_lshlrev_b32_e32 v53, 16, v53
	v_fmac_f32_e32 v55, v8, v56
	v_fmac_f32_e32 v59, v7, v58
	s_delay_alu instid0(VALU_DEP_3) | instskip(NEXT) | instid1(VALU_DEP_1)
	v_fmac_f32_e32 v51, v9, v53
	v_dual_fmac_f32 v59, v8, v60 :: v_dual_fmac_f32 v46, v11, v51
	v_lshlrev_b32_e32 v57, 16, v57
	s_delay_alu instid0(VALU_DEP_1) | instskip(SKIP_1) | instid1(VALU_DEP_1)
	v_fmac_f32_e32 v55, v9, v57
	s_waitcnt vmcnt(0)
	v_dual_fmac_f32 v46, v12, v55 :: v_dual_lshlrev_b32 v61, 16, v61
	s_delay_alu instid0(VALU_DEP_1) | instskip(NEXT) | instid1(VALU_DEP_1)
	v_fmac_f32_e32 v59, v9, v61
	v_fmac_f32_e32 v46, v13, v59
	s_delay_alu instid0(VALU_DEP_1) | instskip(SKIP_1) | instid1(VALU_DEP_2)
	v_bfe_u32 v47, v46, 16, 1
	v_cmp_o_f32_e32 vcc_lo, v46, v46
	v_add3_u32 v47, v46, v47, 0x7fff
	s_delay_alu instid0(VALU_DEP_1) | instskip(NEXT) | instid1(VALU_DEP_1)
	v_lshrrev_b32_e32 v47, 16, v47
	v_cndmask_b32_e32 v46, 0x7fc0, v47, vcc_lo
	global_store_b16 v[2:3], v46, off
	v_add_co_u32 v2, vcc_lo, v2, s10
	v_add_co_ci_u32_e32 v3, vcc_lo, s11, v3, vcc_lo
	s_cbranch_scc1 .LBB7_6
	s_branch .LBB7_4
.LBB7_7:
	s_mov_b32 s2, 0
.LBB7_8:
	s_delay_alu instid0(SALU_CYCLE_1)
	s_and_not1_b32 vcc_lo, exec_lo, s2
	s_cbranch_vccnz .LBB7_14
; %bb.9:
	s_and_not1_b32 vcc_lo, exec_lo, s5
	s_cbranch_vccnz .LBB7_14
; %bb.10:
	s_clause 0x1
	s_load_b256 s[8:15], s[0:1], 0x38
	s_load_b256 s[16:23], s[0:1], 0x80
	v_ashrrev_i32_e32 v6, 31, v4
	s_clause 0x1
	s_load_b64 s[2:3], s[0:1], 0x10
	s_load_b64 s[0:1], s[0:1], 0x58
	v_ashrrev_i32_e32 v8, 31, v5
	s_cmp_gt_i32 s6, 0
	s_mov_b32 s5, 0
	s_cselect_b32 s7, -1, 0
	s_waitcnt lgkmcnt(0)
	v_mul_lo_u32 v10, s13, v4
	v_mul_lo_u32 v11, s12, v6
	v_mad_u64_u32 v[0:1], null, s12, v4, 0
	v_mul_lo_u32 v14, s21, v4
	v_mul_lo_u32 v15, s20, v6
	v_mad_u64_u32 v[6:7], null, s20, v4, 0
	;; [unrolled: 3-line block ×4, first 2 shown]
	v_add3_u32 v1, v1, v11, v10
	v_add3_u32 v7, v7, v15, v14
	;; [unrolled: 1-line block ×3, first 2 shown]
	s_lshl_b64 s[8:9], s[8:9], 1
	s_lshl_b64 s[10:11], s[10:11], 1
	v_lshlrev_b64 v[0:1], 1, v[0:1]
	v_add3_u32 v9, v9, v16, v4
	v_lshlrev_b64 v[4:5], 1, v[6:7]
	v_lshlrev_b64 v[2:3], 1, v[2:3]
	s_delay_alu instid0(VALU_DEP_4)
	v_add_co_u32 v0, vcc_lo, s2, v0
	v_add_co_ci_u32_e32 v1, vcc_lo, s3, v1, vcc_lo
	v_lshlrev_b64 v[6:7], 1, v[8:9]
	v_add_co_u32 v4, vcc_lo, s0, v4
	v_add_co_ci_u32_e32 v5, vcc_lo, s1, v5, vcc_lo
	v_add_co_u32 v0, vcc_lo, v0, v2
	v_add_co_ci_u32_e32 v1, vcc_lo, v1, v3, vcc_lo
	s_delay_alu instid0(VALU_DEP_4) | instskip(NEXT) | instid1(VALU_DEP_4)
	v_add_co_u32 v2, vcc_lo, v4, v6
	v_add_co_ci_u32_e32 v3, vcc_lo, v5, v7, vcc_lo
	s_lshl_b64 s[0:1], s[16:17], 1
	s_lshl_b64 s[2:3], s[18:19], 1
	s_set_inst_prefetch_distance 0x1
	s_branch .LBB7_12
	.p2align	6
.LBB7_11:                               ;   in Loop: Header=BB7_12 Depth=1
	v_add_co_u32 v2, vcc_lo, v2, s0
	v_add_co_ci_u32_e32 v3, vcc_lo, s1, v3, vcc_lo
	v_add_co_u32 v0, vcc_lo, v0, s8
	v_add_co_ci_u32_e32 v1, vcc_lo, s9, v1, vcc_lo
	s_add_i32 s5, s5, 1
	s_delay_alu instid0(SALU_CYCLE_1)
	s_cmp_eq_u32 s5, s4
	s_cbranch_scc1 .LBB7_14
.LBB7_12:                               ; =>This Loop Header: Depth=1
                                        ;     Child Loop BB7_13 Depth 2
	s_delay_alu instid0(VALU_DEP_1)
	v_dual_mov_b32 v5, v1 :: v_dual_mov_b32 v4, v0
	v_dual_mov_b32 v7, v3 :: v_dual_mov_b32 v6, v2
	s_and_not1_b32 vcc_lo, exec_lo, s7
	s_mov_b32 s12, s6
	s_cbranch_vccnz .LBB7_11
.LBB7_13:                               ;   Parent Loop BB7_12 Depth=1
                                        ; =>  This Inner Loop Header: Depth=2
	global_load_u16 v8, v[4:5], off
	v_add_co_u32 v4, vcc_lo, v4, s10
	v_add_co_ci_u32_e32 v5, vcc_lo, s11, v5, vcc_lo
	s_add_i32 s12, s12, -1
	s_delay_alu instid0(SALU_CYCLE_1)
	s_cmp_eq_u32 s12, 0
	s_waitcnt vmcnt(0)
	global_store_b16 v[6:7], v8, off
	v_add_co_u32 v6, vcc_lo, v6, s2
	v_add_co_ci_u32_e32 v7, vcc_lo, s3, v7, vcc_lo
	s_cbranch_scc0 .LBB7_13
	s_branch .LBB7_11
.LBB7_14:
	s_set_inst_prefetch_distance 0x2
	s_nop 0
	s_sendmsg sendmsg(MSG_DEALLOC_VGPRS)
	s_endpgm
	.section	.rodata,"a",@progbits
	.p2align	6, 0x0
	.amdhsa_kernel _ZN2at6native12_GLOBAL__N_128upsample_bicubic2d_out_frameIN3c108BFloat16EfEEviT0_S5_bN5torch10headeronly6detail27GenericPackedTensorAccessorINS8_14TensorAccessorINS3_8ArrayRefIlEEKT_Lm3ENS7_16DefaultPtrTraitsElEENS_6detail16IndexBoundsCheckILm4ElEESE_Lm4ESF_lEENS9_INSA_ISC_SD_Lm3ESF_lEESJ_SD_Lm4ESF_lEE
		.amdhsa_group_segment_fixed_size 0
		.amdhsa_private_segment_fixed_size 0
		.amdhsa_kernarg_size 416
		.amdhsa_user_sgpr_count 15
		.amdhsa_user_sgpr_dispatch_ptr 0
		.amdhsa_user_sgpr_queue_ptr 0
		.amdhsa_user_sgpr_kernarg_segment_ptr 1
		.amdhsa_user_sgpr_dispatch_id 0
		.amdhsa_user_sgpr_private_segment_size 0
		.amdhsa_wavefront_size32 1
		.amdhsa_uses_dynamic_stack 0
		.amdhsa_enable_private_segment 0
		.amdhsa_system_sgpr_workgroup_id_x 1
		.amdhsa_system_sgpr_workgroup_id_y 0
		.amdhsa_system_sgpr_workgroup_id_z 0
		.amdhsa_system_sgpr_workgroup_info 0
		.amdhsa_system_vgpr_workitem_id 0
		.amdhsa_next_free_vgpr 78
		.amdhsa_next_free_sgpr 31
		.amdhsa_reserve_vcc 1
		.amdhsa_float_round_mode_32 0
		.amdhsa_float_round_mode_16_64 0
		.amdhsa_float_denorm_mode_32 3
		.amdhsa_float_denorm_mode_16_64 3
		.amdhsa_dx10_clamp 1
		.amdhsa_ieee_mode 1
		.amdhsa_fp16_overflow 0
		.amdhsa_workgroup_processor_mode 1
		.amdhsa_memory_ordered 1
		.amdhsa_forward_progress 0
		.amdhsa_shared_vgpr_count 0
		.amdhsa_exception_fp_ieee_invalid_op 0
		.amdhsa_exception_fp_denorm_src 0
		.amdhsa_exception_fp_ieee_div_zero 0
		.amdhsa_exception_fp_ieee_overflow 0
		.amdhsa_exception_fp_ieee_underflow 0
		.amdhsa_exception_fp_ieee_inexact 0
		.amdhsa_exception_int_div_zero 0
	.end_amdhsa_kernel
	.section	.text._ZN2at6native12_GLOBAL__N_128upsample_bicubic2d_out_frameIN3c108BFloat16EfEEviT0_S5_bN5torch10headeronly6detail27GenericPackedTensorAccessorINS8_14TensorAccessorINS3_8ArrayRefIlEEKT_Lm3ENS7_16DefaultPtrTraitsElEENS_6detail16IndexBoundsCheckILm4ElEESE_Lm4ESF_lEENS9_INSA_ISC_SD_Lm3ESF_lEESJ_SD_Lm4ESF_lEE,"axG",@progbits,_ZN2at6native12_GLOBAL__N_128upsample_bicubic2d_out_frameIN3c108BFloat16EfEEviT0_S5_bN5torch10headeronly6detail27GenericPackedTensorAccessorINS8_14TensorAccessorINS3_8ArrayRefIlEEKT_Lm3ENS7_16DefaultPtrTraitsElEENS_6detail16IndexBoundsCheckILm4ElEESE_Lm4ESF_lEENS9_INSA_ISC_SD_Lm3ESF_lEESJ_SD_Lm4ESF_lEE,comdat
.Lfunc_end7:
	.size	_ZN2at6native12_GLOBAL__N_128upsample_bicubic2d_out_frameIN3c108BFloat16EfEEviT0_S5_bN5torch10headeronly6detail27GenericPackedTensorAccessorINS8_14TensorAccessorINS3_8ArrayRefIlEEKT_Lm3ENS7_16DefaultPtrTraitsElEENS_6detail16IndexBoundsCheckILm4ElEESE_Lm4ESF_lEENS9_INSA_ISC_SD_Lm3ESF_lEESJ_SD_Lm4ESF_lEE, .Lfunc_end7-_ZN2at6native12_GLOBAL__N_128upsample_bicubic2d_out_frameIN3c108BFloat16EfEEviT0_S5_bN5torch10headeronly6detail27GenericPackedTensorAccessorINS8_14TensorAccessorINS3_8ArrayRefIlEEKT_Lm3ENS7_16DefaultPtrTraitsElEENS_6detail16IndexBoundsCheckILm4ElEESE_Lm4ESF_lEENS9_INSA_ISC_SD_Lm3ESF_lEESJ_SD_Lm4ESF_lEE
                                        ; -- End function
	.section	.AMDGPU.csdata,"",@progbits
; Kernel info:
; codeLenInByte = 2560
; NumSgprs: 33
; NumVgprs: 78
; ScratchSize: 0
; MemoryBound: 0
; FloatMode: 240
; IeeeMode: 1
; LDSByteSize: 0 bytes/workgroup (compile time only)
; SGPRBlocks: 4
; VGPRBlocks: 9
; NumSGPRsForWavesPerEU: 33
; NumVGPRsForWavesPerEU: 78
; Occupancy: 16
; WaveLimiterHint : 1
; COMPUTE_PGM_RSRC2:SCRATCH_EN: 0
; COMPUTE_PGM_RSRC2:USER_SGPR: 15
; COMPUTE_PGM_RSRC2:TRAP_HANDLER: 0
; COMPUTE_PGM_RSRC2:TGID_X_EN: 1
; COMPUTE_PGM_RSRC2:TGID_Y_EN: 0
; COMPUTE_PGM_RSRC2:TGID_Z_EN: 0
; COMPUTE_PGM_RSRC2:TIDIG_COMP_CNT: 0
	.section	.text._ZN2at6native12_GLOBAL__N_137upsample_bicubic2d_backward_out_frameIddEEviT0_S3_bN5torch10headeronly6detail27GenericPackedTensorAccessorINS6_14TensorAccessorIN3c108ArrayRefIlEET_Lm3ENS5_16DefaultPtrTraitsElEENS_6detail16IndexBoundsCheckILm4ElEESC_Lm4ESD_lEENS7_INS8_ISB_KSC_Lm3ESD_lEESH_SJ_Lm4ESD_lEE,"axG",@progbits,_ZN2at6native12_GLOBAL__N_137upsample_bicubic2d_backward_out_frameIddEEviT0_S3_bN5torch10headeronly6detail27GenericPackedTensorAccessorINS6_14TensorAccessorIN3c108ArrayRefIlEET_Lm3ENS5_16DefaultPtrTraitsElEENS_6detail16IndexBoundsCheckILm4ElEESC_Lm4ESD_lEENS7_INS8_ISB_KSC_Lm3ESD_lEESH_SJ_Lm4ESD_lEE,comdat
	.globl	_ZN2at6native12_GLOBAL__N_137upsample_bicubic2d_backward_out_frameIddEEviT0_S3_bN5torch10headeronly6detail27GenericPackedTensorAccessorINS6_14TensorAccessorIN3c108ArrayRefIlEET_Lm3ENS5_16DefaultPtrTraitsElEENS_6detail16IndexBoundsCheckILm4ElEESC_Lm4ESD_lEENS7_INS8_ISB_KSC_Lm3ESD_lEESH_SJ_Lm4ESD_lEE ; -- Begin function _ZN2at6native12_GLOBAL__N_137upsample_bicubic2d_backward_out_frameIddEEviT0_S3_bN5torch10headeronly6detail27GenericPackedTensorAccessorINS6_14TensorAccessorIN3c108ArrayRefIlEET_Lm3ENS5_16DefaultPtrTraitsElEENS_6detail16IndexBoundsCheckILm4ElEESC_Lm4ESD_lEENS7_INS8_ISB_KSC_Lm3ESD_lEESH_SJ_Lm4ESD_lEE
	.p2align	8
	.type	_ZN2at6native12_GLOBAL__N_137upsample_bicubic2d_backward_out_frameIddEEviT0_S3_bN5torch10headeronly6detail27GenericPackedTensorAccessorINS6_14TensorAccessorIN3c108ArrayRefIlEET_Lm3ENS5_16DefaultPtrTraitsElEENS_6detail16IndexBoundsCheckILm4ElEESC_Lm4ESD_lEENS7_INS8_ISB_KSC_Lm3ESD_lEESH_SJ_Lm4ESD_lEE,@function
_ZN2at6native12_GLOBAL__N_137upsample_bicubic2d_backward_out_frameIddEEviT0_S3_bN5torch10headeronly6detail27GenericPackedTensorAccessorINS6_14TensorAccessorIN3c108ArrayRefIlEET_Lm3ENS5_16DefaultPtrTraitsElEENS_6detail16IndexBoundsCheckILm4ElEESC_Lm4ESD_lEENS7_INS8_ISB_KSC_Lm3ESD_lEESH_SJ_Lm4ESD_lEE: ; @_ZN2at6native12_GLOBAL__N_137upsample_bicubic2d_backward_out_frameIddEEviT0_S3_bN5torch10headeronly6detail27GenericPackedTensorAccessorINS6_14TensorAccessorIN3c108ArrayRefIlEET_Lm3ENS5_16DefaultPtrTraitsElEENS_6detail16IndexBoundsCheckILm4ElEESC_Lm4ESD_lEENS7_INS8_ISB_KSC_Lm3ESD_lEESH_SJ_Lm4ESD_lEE
; %bb.0:
	s_clause 0x1
	s_load_b32 s2, s[0:1], 0xbc
	s_load_b32 s3, s[0:1], 0x0
	s_waitcnt lgkmcnt(0)
	s_and_b32 s2, s2, 0xffff
	s_delay_alu instid0(SALU_CYCLE_1) | instskip(SKIP_1) | instid1(VALU_DEP_1)
	v_mad_u64_u32 v[1:2], null, s15, s2, v[0:1]
	s_mov_b32 s2, exec_lo
	v_cmpx_gt_i32_e64 s3, v1
	s_cbranch_execz .LBB8_55
; %bb.1:
	s_load_b128 s[12:15], s[0:1], 0x80
	v_sub_nc_u32_e32 v3, 0, v1
	s_load_b256 s[4:11], s[0:1], 0x28
	s_delay_alu instid0(VALU_DEP_1) | instskip(SKIP_2) | instid1(SALU_CYCLE_1)
	v_max_i32_e32 v3, v1, v3
	s_waitcnt lgkmcnt(0)
	s_abs_i32 s2, s14
	v_cvt_f32_u32_e32 v0, s2
	s_sub_i32 s3, 0, s2
	s_cmp_lg_u32 s8, s12
	s_delay_alu instid0(VALU_DEP_1) | instskip(SKIP_2) | instid1(VALU_DEP_1)
	v_rcp_iflag_f32_e32 v0, v0
	s_waitcnt_depctr 0xfff
	v_mul_f32_e32 v0, 0x4f7ffffe, v0
	v_cvt_u32_f32_e32 v0, v0
	s_delay_alu instid0(VALU_DEP_1) | instskip(NEXT) | instid1(VALU_DEP_1)
	v_mul_lo_u32 v2, s3, v0
	v_mul_hi_u32 v2, v0, v2
	s_delay_alu instid0(VALU_DEP_1) | instskip(NEXT) | instid1(VALU_DEP_1)
	v_add_nc_u32_e32 v0, v0, v2
	v_mul_hi_u32 v0, v3, v0
	s_delay_alu instid0(VALU_DEP_1) | instskip(NEXT) | instid1(VALU_DEP_1)
	v_mul_lo_u32 v2, v0, s2
	v_sub_nc_u32_e32 v2, v3, v2
	v_add_nc_u32_e32 v3, 1, v0
	s_delay_alu instid0(VALU_DEP_2) | instskip(SKIP_1) | instid1(VALU_DEP_3)
	v_subrev_nc_u32_e32 v4, s2, v2
	v_cmp_le_u32_e32 vcc_lo, s2, v2
	v_cndmask_b32_e32 v0, v0, v3, vcc_lo
	s_delay_alu instid0(VALU_DEP_3) | instskip(SKIP_1) | instid1(VALU_DEP_3)
	v_cndmask_b32_e32 v2, v2, v4, vcc_lo
	v_xor_b32_e32 v3, s14, v1
	v_add_nc_u32_e32 v4, 1, v0
	s_delay_alu instid0(VALU_DEP_3) | instskip(NEXT) | instid1(VALU_DEP_3)
	v_cmp_le_u32_e32 vcc_lo, s2, v2
	v_ashrrev_i32_e32 v3, 31, v3
	s_cselect_b32 s2, -1, 0
	s_cmp_lg_u32 s10, s14
	v_cndmask_b32_e32 v0, v0, v4, vcc_lo
	s_cselect_b32 s3, -1, 0
	s_delay_alu instid0(SALU_CYCLE_1) | instskip(NEXT) | instid1(VALU_DEP_1)
	s_or_b32 s2, s3, s2
	v_xor_b32_e32 v0, v0, v3
	s_and_b32 vcc_lo, exec_lo, s2
	s_mov_b32 s2, -1
	s_delay_alu instid0(VALU_DEP_1) | instskip(NEXT) | instid1(VALU_DEP_1)
	v_sub_nc_u32_e32 v44, v0, v3
	v_mul_lo_u32 v0, v44, s14
	s_delay_alu instid0(VALU_DEP_1)
	v_sub_nc_u32_e32 v45, v1, v0
	s_cbranch_vccz .LBB8_49
; %bb.2:
	s_delay_alu instid0(VALU_DEP_1)
	v_cvt_f64_i32_e32 v[2:3], v45
	s_clause 0x1
	s_load_b32 s2, s[0:1], 0x18
	s_load_b128 s[12:15], s[0:1], 0x8
	s_mov_b32 s3, -1
	s_waitcnt lgkmcnt(0)
	s_bitcmp1_b32 s2, 0
	s_cselect_b32 s2, -1, 0
	s_delay_alu instid0(SALU_CYCLE_1) | instskip(NEXT) | instid1(SALU_CYCLE_1)
	s_xor_b32 s2, s2, -1
	s_and_b32 vcc_lo, exec_lo, s2
	s_cbranch_vccz .LBB8_4
; %bb.3:
	s_delay_alu instid0(VALU_DEP_1) | instskip(NEXT) | instid1(VALU_DEP_1)
	v_add_f64 v[0:1], v[2:3], 0.5
	v_fma_f64 v[0:1], v[0:1], s[14:15], -0.5
	s_cbranch_execz .LBB8_5
	s_branch .LBB8_6
.LBB8_4:
                                        ; implicit-def: $vgpr0_vgpr1
	s_and_not1_b32 vcc_lo, exec_lo, s3
	s_cbranch_vccnz .LBB8_6
.LBB8_5:
	s_delay_alu instid0(VALU_DEP_1)
	v_mul_f64 v[0:1], v[2:3], s[14:15]
.LBB8_6:
	v_cvt_f64_i32_e32 v[4:5], v44
	s_and_b32 vcc_lo, exec_lo, s2
	s_cbranch_vccz .LBB8_8
; %bb.7:
	s_delay_alu instid0(VALU_DEP_1) | instskip(NEXT) | instid1(VALU_DEP_1)
	v_add_f64 v[2:3], v[4:5], 0.5
	v_fma_f64 v[2:3], v[2:3], s[12:13], -0.5
	s_cbranch_execz .LBB8_9
	s_branch .LBB8_10
.LBB8_8:
                                        ; implicit-def: $vgpr2_vgpr3
.LBB8_9:
	s_delay_alu instid0(VALU_DEP_1)
	v_mul_f64 v[2:3], v[4:5], s[12:13]
.LBB8_10:
	s_cmp_lt_i32 s4, 1
	s_cbranch_scc1 .LBB8_48
; %bb.11:
	s_delay_alu instid0(VALU_DEP_3) | instskip(NEXT) | instid1(VALU_DEP_2)
	v_cvt_f32_f64_e32 v4, v[0:1]
	v_cvt_f32_f64_e32 v5, v[2:3]
	s_load_b256 s[12:19], s[0:1], 0x90
	s_mov_b32 s20, 0
	s_mov_b32 s21, 0x3ff40000
	v_ashrrev_i32_e32 v34, 31, v45
	s_mov_b32 s2, 0
	s_mov_b32 s3, 0xbfe80000
	s_load_b64 s[24:25], s[0:1], 0x68
	s_cmp_gt_i32 s6, 0
	s_cselect_b32 s5, -1, 0
	s_add_i32 s7, s8, -1
	s_add_i32 s8, s10, -1
	s_waitcnt lgkmcnt(0)
	v_mul_lo_u32 v40, s19, v45
	v_mul_lo_u32 v41, s18, v34
	v_mad_u64_u32 v[34:35], null, s18, v45, 0
	v_mul_lo_u32 v36, s17, v44
	s_delay_alu instid0(VALU_DEP_2) | instskip(SKIP_2) | instid1(VALU_DEP_2)
	v_add3_u32 v35, v35, v41, v40
	v_floor_f32_e32 v4, v4
	v_floor_f32_e32 v5, v5
	v_cvt_i32_f32_e32 v38, v4
	s_delay_alu instid0(VALU_DEP_2) | instskip(NEXT) | instid1(VALU_DEP_2)
	v_cvt_i32_f32_e32 v39, v5
	v_cvt_f64_i32_e32 v[4:5], v38
	s_delay_alu instid0(VALU_DEP_2) | instskip(SKIP_2) | instid1(VALU_DEP_4)
	v_cvt_f64_i32_e32 v[6:7], v39
	v_minmax_i32 v54, v38, s8, 0
	v_minmax_i32 v58, v39, s7, 0
	v_add_f64 v[0:1], v[0:1], -v[4:5]
	s_delay_alu instid0(VALU_DEP_4) | instskip(SKIP_1) | instid1(VALU_DEP_1)
	v_add_f64 v[2:3], v[2:3], -v[6:7]
	v_ashrrev_i32_e32 v4, 31, v44
	v_mul_lo_u32 v37, s16, v4
	v_mad_u64_u32 v[4:5], null, s16, v44, 0
	s_delay_alu instid0(VALU_DEP_1) | instskip(SKIP_3) | instid1(VALU_DEP_4)
	v_add3_u32 v5, v5, v37, v36
	v_lshlrev_b64 v[36:37], 3, v[34:35]
	v_add_nc_u32_e32 v34, 1, v38
	v_add_nc_u32_e32 v35, 2, v38
	v_lshlrev_b64 v[4:5], 3, v[4:5]
	s_delay_alu instid0(VALU_DEP_3) | instskip(NEXT) | instid1(VALU_DEP_3)
	v_minmax_i32 v60, v34, s8, 0
	v_minmax_i32 v61, v35, s8, 0
	s_delay_alu instid0(VALU_DEP_3) | instskip(NEXT) | instid1(VALU_DEP_4)
	v_add_co_u32 v56, vcc_lo, s24, v4
	v_add_co_ci_u32_e32 v57, vcc_lo, s25, v5, vcc_lo
	v_add_f64 v[10:11], -v[0:1], 1.0
	v_add_f64 v[14:15], -v[2:3], 1.0
	v_add_f64 v[8:9], v[0:1], 1.0
	v_add_f64 v[12:13], v[2:3], 1.0
	v_fma_f64 v[6:7], v[0:1], s[20:21], 0xc0020000
	v_fma_f64 v[20:21], v[2:3], s[20:21], 0xc0020000
	v_add_f64 v[16:17], v[10:11], 1.0
	v_add_f64 v[18:19], v[14:15], 1.0
	v_fma_f64 v[22:23], v[8:9], s[2:3], 0x400e0000
	v_fma_f64 v[24:25], v[10:11], s[20:21], 0xc0020000
	;; [unrolled: 1-line block ×6, first 2 shown]
	s_clause 0x1
	s_load_b64 s[2:3], s[0:1], 0x20
	s_load_b256 s[16:23], s[0:1], 0x48
	s_waitcnt lgkmcnt(0)
	v_mad_u64_u32 v[42:43], null, s22, v60, 0
	v_add_nc_u32_e32 v4, -1, v39
	v_mad_u64_u32 v[46:47], null, s22, v61, 0
	v_add_nc_u32_e32 v5, -1, v38
	v_mad_u64_u32 v[34:35], null, s20, v58, 0
	s_delay_alu instid0(VALU_DEP_4) | instskip(SKIP_1) | instid1(VALU_DEP_4)
	v_minmax_i32 v55, v4, s7, 0
	v_add_nc_u32_e32 v38, 1, v39
	v_minmax_i32 v59, v5, s8, 0
	v_mul_f64 v[4:5], v[0:1], v[6:7]
	v_mul_f64 v[6:7], v[2:3], v[20:21]
	v_fma_f64 v[20:21], v[8:9], v[22:23], 0xc0180000
	v_mul_f64 v[22:23], v[10:11], v[24:25]
	v_fma_f64 v[24:25], v[12:13], v[26:27], 0xc0180000
	;; [unrolled: 2-line block ×3, first 2 shown]
	v_fma_f64 v[30:31], v[18:19], v[32:33], 0xc0180000
	v_mad_u64_u32 v[32:33], null, s22, v54, 0
	v_add_nc_u32_e32 v39, 2, v39
	v_minmax_i32 v62, v38, s7, 0
	v_mad_u64_u32 v[40:41], null, s22, v59, 0
	s_delay_alu instid0(VALU_DEP_3) | instskip(SKIP_3) | instid1(VALU_DEP_4)
	v_minmax_i32 v63, v39, s7, 0
	v_mad_u64_u32 v[52:53], null, s23, v54, v[33:34]
	v_mov_b32_e32 v33, v43
	v_mad_u64_u32 v[48:49], null, s20, v62, 0
	v_mad_u64_u32 v[50:51], null, s20, v63, 0
	;; [unrolled: 1-line block ×3, first 2 shown]
	s_mov_b32 s7, 0
	s_delay_alu instid0(VALU_DEP_1)
	v_mad_u64_u32 v[53:54], null, s21, v55, v[39:40]
	v_mad_u64_u32 v[54:55], null, s23, v59, v[41:42]
	v_fma_f64 v[4:5], v[0:1], v[4:5], 1.0
	v_fma_f64 v[6:7], v[2:3], v[6:7], 1.0
	v_mov_b32_e32 v3, v49
	v_fma_f64 v[8:9], v[8:9], v[20:21], 0x40080000
	v_fma_f64 v[10:11], v[10:11], v[22:23], 1.0
	v_fma_f64 v[12:13], v[12:13], v[24:25], 0x40080000
	v_fma_f64 v[14:15], v[14:15], v[26:27], 1.0
	v_fma_f64 v[16:17], v[16:17], v[28:29], 0x40080000
	v_fma_f64 v[18:19], v[18:19], v[30:31], 0x40080000
	v_mad_u64_u32 v[0:1], null, s23, v60, v[33:34]
	v_mov_b32_e32 v1, v35
	v_mov_b32_e32 v2, v47
	v_dual_mov_b32 v20, v51 :: v_dual_mov_b32 v39, v53
	v_mov_b32_e32 v41, v54
	v_mov_b32_e32 v33, v52
	s_delay_alu instid0(VALU_DEP_4) | instskip(SKIP_1) | instid1(VALU_DEP_4)
	v_mad_u64_u32 v[21:22], null, s21, v58, v[1:2]
	v_mov_b32_e32 v43, v0
	v_lshlrev_b64 v[28:29], 3, v[40:41]
	s_delay_alu instid0(VALU_DEP_4) | instskip(NEXT) | instid1(VALU_DEP_3)
	v_lshlrev_b64 v[30:31], 3, v[32:33]
	v_lshlrev_b64 v[32:33], 3, v[42:43]
	v_mov_b32_e32 v35, v21
	v_mad_u64_u32 v[22:23], null, s21, v62, v[3:4]
	v_mad_u64_u32 v[23:24], null, s21, v63, v[20:21]
	;; [unrolled: 1-line block ×3, first 2 shown]
	v_lshlrev_b64 v[20:21], 3, v[38:39]
	s_delay_alu instid0(VALU_DEP_4) | instskip(NEXT) | instid1(VALU_DEP_4)
	v_mov_b32_e32 v49, v22
	v_mov_b32_e32 v51, v23
	v_lshlrev_b64 v[22:23], 3, v[34:35]
	v_mov_b32_e32 v47, v24
	s_delay_alu instid0(VALU_DEP_4) | instskip(NEXT) | instid1(VALU_DEP_4)
	v_lshlrev_b64 v[24:25], 3, v[48:49]
	v_lshlrev_b64 v[26:27], 3, v[50:51]
	s_delay_alu instid0(VALU_DEP_3)
	v_lshlrev_b64 v[34:35], 3, v[46:47]
	v_add_co_u32 v46, vcc_lo, v56, v36
	v_add_co_ci_u32_e32 v47, vcc_lo, v57, v37, vcc_lo
	s_branch .LBB8_13
.LBB8_12:                               ;   in Loop: Header=BB8_13 Depth=1
	s_add_i32 s7, s7, 1
	s_delay_alu instid0(SALU_CYCLE_1)
	s_cmp_eq_u32 s7, s4
	s_cbranch_scc1 .LBB8_48
.LBB8_13:                               ; =>This Loop Header: Depth=1
                                        ;     Child Loop BB8_15 Depth 2
                                        ;       Child Loop BB8_16 Depth 3
                                        ;       Child Loop BB8_18 Depth 3
	;; [unrolled: 1-line block ×16, first 2 shown]
	s_and_not1_b32 vcc_lo, exec_lo, s5
	s_cbranch_vccnz .LBB8_12
; %bb.14:                               ;   in Loop: Header=BB8_13 Depth=1
	s_mul_i32 s8, s13, s7
	s_mul_hi_u32 s9, s12, s7
	s_mul_i32 s10, s17, s7
	s_add_i32 s9, s9, s8
	s_mul_i32 s8, s12, s7
	s_mul_hi_u32 s11, s16, s7
	s_lshl_b64 s[8:9], s[8:9], 3
	s_add_i32 s11, s11, s10
	s_mul_i32 s10, s16, s7
	v_add_co_u32 v48, vcc_lo, v46, s8
	s_lshl_b64 s[10:11], s[10:11], 3
	v_add_co_ci_u32_e32 v49, vcc_lo, s9, v47, vcc_lo
	s_add_u32 s8, s2, s10
	s_addc_u32 s9, s3, s11
	s_mov_b32 s10, 0
.LBB8_15:                               ;   Parent Loop BB8_13 Depth=1
                                        ; =>  This Loop Header: Depth=2
                                        ;       Child Loop BB8_16 Depth 3
                                        ;       Child Loop BB8_18 Depth 3
	;; [unrolled: 1-line block ×16, first 2 shown]
	s_delay_alu instid0(SALU_CYCLE_1)
	s_mul_i32 s11, s15, s10
	s_mul_hi_u32 s21, s14, s10
	s_mul_i32 s20, s14, s10
	s_add_i32 s21, s21, s11
	s_mul_i32 s11, s19, s10
	s_lshl_b64 s[20:21], s[20:21], 3
	s_delay_alu instid0(SALU_CYCLE_1) | instskip(SKIP_2) | instid1(SALU_CYCLE_1)
	v_add_co_u32 v0, vcc_lo, v48, s20
	v_add_co_ci_u32_e32 v1, vcc_lo, s21, v49, vcc_lo
	s_mul_hi_u32 s20, s18, s10
	s_add_i32 s21, s20, s11
	global_load_b64 v[36:37], v[0:1], off
	s_mul_i32 s20, s18, s10
	s_delay_alu instid0(SALU_CYCLE_1) | instskip(NEXT) | instid1(SALU_CYCLE_1)
	s_lshl_b64 s[20:21], s[20:21], 3
	s_add_u32 s11, s8, s20
	s_addc_u32 s20, s9, s21
	v_add_co_u32 v50, vcc_lo, s11, v20
	v_add_co_ci_u32_e32 v51, vcc_lo, s20, v21, vcc_lo
	s_mov_b32 s21, 0
	s_delay_alu instid0(VALU_DEP_2) | instskip(NEXT) | instid1(VALU_DEP_2)
	v_add_co_u32 v40, vcc_lo, v50, v28
	v_add_co_ci_u32_e32 v41, vcc_lo, v51, v29, vcc_lo
	global_load_b64 v[2:3], v[40:41], off
	s_waitcnt vmcnt(1)
	v_mul_f64 v[38:39], v[36:37], v[12:13]
	s_delay_alu instid0(VALU_DEP_1)
	v_mul_f64 v[42:43], v[38:39], v[8:9]
.LBB8_16:                               ;   Parent Loop BB8_13 Depth=1
                                        ;     Parent Loop BB8_15 Depth=2
                                        ; =>    This Inner Loop Header: Depth=3
	s_waitcnt vmcnt(0)
	s_delay_alu instid0(VALU_DEP_1)
	v_add_f64 v[0:1], v[2:3], v[42:43]
	global_atomic_cmpswap_b64 v[0:1], v[40:41], v[0:3], off glc
	s_waitcnt vmcnt(0)
	v_cmp_eq_u64_e32 vcc_lo, v[0:1], v[2:3]
	v_dual_mov_b32 v3, v1 :: v_dual_mov_b32 v2, v0
	s_or_b32 s21, vcc_lo, s21
	s_delay_alu instid0(SALU_CYCLE_1)
	s_and_not1_b32 exec_lo, exec_lo, s21
	s_cbranch_execnz .LBB8_16
; %bb.17:                               ;   in Loop: Header=BB8_15 Depth=2
	s_or_b32 exec_lo, exec_lo, s21
	v_add_co_u32 v40, vcc_lo, v50, v30
	v_add_co_ci_u32_e32 v41, vcc_lo, v51, v31, vcc_lo
	v_mul_f64 v[42:43], v[38:39], v[4:5]
	s_mov_b32 s21, 0
	global_load_b64 v[2:3], v[40:41], off
.LBB8_18:                               ;   Parent Loop BB8_13 Depth=1
                                        ;     Parent Loop BB8_15 Depth=2
                                        ; =>    This Inner Loop Header: Depth=3
	s_waitcnt vmcnt(0)
	v_add_f64 v[0:1], v[2:3], v[42:43]
	global_atomic_cmpswap_b64 v[0:1], v[40:41], v[0:3], off glc
	s_waitcnt vmcnt(0)
	v_cmp_eq_u64_e32 vcc_lo, v[0:1], v[2:3]
	v_dual_mov_b32 v3, v1 :: v_dual_mov_b32 v2, v0
	s_or_b32 s21, vcc_lo, s21
	s_delay_alu instid0(SALU_CYCLE_1)
	s_and_not1_b32 exec_lo, exec_lo, s21
	s_cbranch_execnz .LBB8_18
; %bb.19:                               ;   in Loop: Header=BB8_15 Depth=2
	s_or_b32 exec_lo, exec_lo, s21
	v_add_co_u32 v40, vcc_lo, v50, v32
	v_add_co_ci_u32_e32 v41, vcc_lo, v51, v33, vcc_lo
	v_mul_f64 v[42:43], v[38:39], v[10:11]
	s_mov_b32 s21, 0
	global_load_b64 v[2:3], v[40:41], off
.LBB8_20:                               ;   Parent Loop BB8_13 Depth=1
                                        ;     Parent Loop BB8_15 Depth=2
                                        ; =>    This Inner Loop Header: Depth=3
	s_waitcnt vmcnt(0)
	v_add_f64 v[0:1], v[2:3], v[42:43]
	global_atomic_cmpswap_b64 v[0:1], v[40:41], v[0:3], off glc
	s_waitcnt vmcnt(0)
	v_cmp_eq_u64_e32 vcc_lo, v[0:1], v[2:3]
	v_dual_mov_b32 v3, v1 :: v_dual_mov_b32 v2, v0
	s_or_b32 s21, vcc_lo, s21
	s_delay_alu instid0(SALU_CYCLE_1)
	s_and_not1_b32 exec_lo, exec_lo, s21
	s_cbranch_execnz .LBB8_20
	;; [unrolled: 20-line block ×3, first 2 shown]
; %bb.23:                               ;   in Loop: Header=BB8_15 Depth=2
	s_or_b32 exec_lo, exec_lo, s21
	v_add_co_u32 v50, vcc_lo, s11, v22
	v_add_co_ci_u32_e32 v51, vcc_lo, s20, v23, vcc_lo
	v_mul_f64 v[38:39], v[36:37], v[6:7]
	s_delay_alu instid0(VALU_DEP_3) | instskip(NEXT) | instid1(VALU_DEP_3)
	v_add_co_u32 v40, vcc_lo, v50, v28
	v_add_co_ci_u32_e32 v41, vcc_lo, v51, v29, vcc_lo
	s_mov_b32 s21, 0
	global_load_b64 v[2:3], v[40:41], off
	v_mul_f64 v[42:43], v[38:39], v[8:9]
.LBB8_24:                               ;   Parent Loop BB8_13 Depth=1
                                        ;     Parent Loop BB8_15 Depth=2
                                        ; =>    This Inner Loop Header: Depth=3
	s_waitcnt vmcnt(0)
	s_delay_alu instid0(VALU_DEP_1)
	v_add_f64 v[0:1], v[2:3], v[42:43]
	global_atomic_cmpswap_b64 v[0:1], v[40:41], v[0:3], off glc
	s_waitcnt vmcnt(0)
	v_cmp_eq_u64_e32 vcc_lo, v[0:1], v[2:3]
	v_dual_mov_b32 v3, v1 :: v_dual_mov_b32 v2, v0
	s_or_b32 s21, vcc_lo, s21
	s_delay_alu instid0(SALU_CYCLE_1)
	s_and_not1_b32 exec_lo, exec_lo, s21
	s_cbranch_execnz .LBB8_24
; %bb.25:                               ;   in Loop: Header=BB8_15 Depth=2
	s_or_b32 exec_lo, exec_lo, s21
	v_add_co_u32 v40, vcc_lo, v50, v30
	v_add_co_ci_u32_e32 v41, vcc_lo, v51, v31, vcc_lo
	v_mul_f64 v[42:43], v[38:39], v[4:5]
	s_mov_b32 s21, 0
	global_load_b64 v[2:3], v[40:41], off
.LBB8_26:                               ;   Parent Loop BB8_13 Depth=1
                                        ;     Parent Loop BB8_15 Depth=2
                                        ; =>    This Inner Loop Header: Depth=3
	s_waitcnt vmcnt(0)
	v_add_f64 v[0:1], v[2:3], v[42:43]
	global_atomic_cmpswap_b64 v[0:1], v[40:41], v[0:3], off glc
	s_waitcnt vmcnt(0)
	v_cmp_eq_u64_e32 vcc_lo, v[0:1], v[2:3]
	v_dual_mov_b32 v3, v1 :: v_dual_mov_b32 v2, v0
	s_or_b32 s21, vcc_lo, s21
	s_delay_alu instid0(SALU_CYCLE_1)
	s_and_not1_b32 exec_lo, exec_lo, s21
	s_cbranch_execnz .LBB8_26
; %bb.27:                               ;   in Loop: Header=BB8_15 Depth=2
	s_or_b32 exec_lo, exec_lo, s21
	v_add_co_u32 v40, vcc_lo, v50, v32
	v_add_co_ci_u32_e32 v41, vcc_lo, v51, v33, vcc_lo
	v_mul_f64 v[42:43], v[38:39], v[10:11]
	s_mov_b32 s21, 0
	global_load_b64 v[2:3], v[40:41], off
.LBB8_28:                               ;   Parent Loop BB8_13 Depth=1
                                        ;     Parent Loop BB8_15 Depth=2
                                        ; =>    This Inner Loop Header: Depth=3
	s_waitcnt vmcnt(0)
	v_add_f64 v[0:1], v[2:3], v[42:43]
	global_atomic_cmpswap_b64 v[0:1], v[40:41], v[0:3], off glc
	s_waitcnt vmcnt(0)
	v_cmp_eq_u64_e32 vcc_lo, v[0:1], v[2:3]
	v_dual_mov_b32 v3, v1 :: v_dual_mov_b32 v2, v0
	s_or_b32 s21, vcc_lo, s21
	s_delay_alu instid0(SALU_CYCLE_1)
	s_and_not1_b32 exec_lo, exec_lo, s21
	s_cbranch_execnz .LBB8_28
	;; [unrolled: 20-line block ×3, first 2 shown]
; %bb.31:                               ;   in Loop: Header=BB8_15 Depth=2
	s_or_b32 exec_lo, exec_lo, s21
	v_add_co_u32 v50, vcc_lo, s11, v24
	v_add_co_ci_u32_e32 v51, vcc_lo, s20, v25, vcc_lo
	v_mul_f64 v[38:39], v[36:37], v[14:15]
	s_delay_alu instid0(VALU_DEP_3) | instskip(NEXT) | instid1(VALU_DEP_3)
	v_add_co_u32 v40, vcc_lo, v50, v28
	v_add_co_ci_u32_e32 v41, vcc_lo, v51, v29, vcc_lo
	s_mov_b32 s21, 0
	global_load_b64 v[2:3], v[40:41], off
	v_mul_f64 v[42:43], v[38:39], v[8:9]
.LBB8_32:                               ;   Parent Loop BB8_13 Depth=1
                                        ;     Parent Loop BB8_15 Depth=2
                                        ; =>    This Inner Loop Header: Depth=3
	s_waitcnt vmcnt(0)
	s_delay_alu instid0(VALU_DEP_1)
	v_add_f64 v[0:1], v[2:3], v[42:43]
	global_atomic_cmpswap_b64 v[0:1], v[40:41], v[0:3], off glc
	s_waitcnt vmcnt(0)
	v_cmp_eq_u64_e32 vcc_lo, v[0:1], v[2:3]
	v_dual_mov_b32 v3, v1 :: v_dual_mov_b32 v2, v0
	s_or_b32 s21, vcc_lo, s21
	s_delay_alu instid0(SALU_CYCLE_1)
	s_and_not1_b32 exec_lo, exec_lo, s21
	s_cbranch_execnz .LBB8_32
; %bb.33:                               ;   in Loop: Header=BB8_15 Depth=2
	s_or_b32 exec_lo, exec_lo, s21
	v_add_co_u32 v40, vcc_lo, v50, v30
	v_add_co_ci_u32_e32 v41, vcc_lo, v51, v31, vcc_lo
	v_mul_f64 v[42:43], v[38:39], v[4:5]
	s_mov_b32 s21, 0
	global_load_b64 v[2:3], v[40:41], off
.LBB8_34:                               ;   Parent Loop BB8_13 Depth=1
                                        ;     Parent Loop BB8_15 Depth=2
                                        ; =>    This Inner Loop Header: Depth=3
	s_waitcnt vmcnt(0)
	v_add_f64 v[0:1], v[2:3], v[42:43]
	global_atomic_cmpswap_b64 v[0:1], v[40:41], v[0:3], off glc
	s_waitcnt vmcnt(0)
	v_cmp_eq_u64_e32 vcc_lo, v[0:1], v[2:3]
	v_dual_mov_b32 v3, v1 :: v_dual_mov_b32 v2, v0
	s_or_b32 s21, vcc_lo, s21
	s_delay_alu instid0(SALU_CYCLE_1)
	s_and_not1_b32 exec_lo, exec_lo, s21
	s_cbranch_execnz .LBB8_34
; %bb.35:                               ;   in Loop: Header=BB8_15 Depth=2
	s_or_b32 exec_lo, exec_lo, s21
	v_add_co_u32 v40, vcc_lo, v50, v32
	v_add_co_ci_u32_e32 v41, vcc_lo, v51, v33, vcc_lo
	v_mul_f64 v[42:43], v[38:39], v[10:11]
	s_mov_b32 s21, 0
	global_load_b64 v[2:3], v[40:41], off
.LBB8_36:                               ;   Parent Loop BB8_13 Depth=1
                                        ;     Parent Loop BB8_15 Depth=2
                                        ; =>    This Inner Loop Header: Depth=3
	s_waitcnt vmcnt(0)
	v_add_f64 v[0:1], v[2:3], v[42:43]
	global_atomic_cmpswap_b64 v[0:1], v[40:41], v[0:3], off glc
	s_waitcnt vmcnt(0)
	v_cmp_eq_u64_e32 vcc_lo, v[0:1], v[2:3]
	v_dual_mov_b32 v3, v1 :: v_dual_mov_b32 v2, v0
	s_or_b32 s21, vcc_lo, s21
	s_delay_alu instid0(SALU_CYCLE_1)
	s_and_not1_b32 exec_lo, exec_lo, s21
	s_cbranch_execnz .LBB8_36
	;; [unrolled: 20-line block ×3, first 2 shown]
; %bb.39:                               ;   in Loop: Header=BB8_15 Depth=2
	s_or_b32 exec_lo, exec_lo, s21
	v_add_co_u32 v42, vcc_lo, s11, v26
	v_add_co_ci_u32_e32 v43, vcc_lo, s20, v27, vcc_lo
	v_mul_f64 v[36:37], v[36:37], v[18:19]
	s_delay_alu instid0(VALU_DEP_3) | instskip(NEXT) | instid1(VALU_DEP_3)
	v_add_co_u32 v38, vcc_lo, v42, v28
	v_add_co_ci_u32_e32 v39, vcc_lo, v43, v29, vcc_lo
	s_mov_b32 s11, 0
	global_load_b64 v[2:3], v[38:39], off
	v_mul_f64 v[40:41], v[36:37], v[8:9]
.LBB8_40:                               ;   Parent Loop BB8_13 Depth=1
                                        ;     Parent Loop BB8_15 Depth=2
                                        ; =>    This Inner Loop Header: Depth=3
	s_waitcnt vmcnt(0)
	s_delay_alu instid0(VALU_DEP_1)
	v_add_f64 v[0:1], v[2:3], v[40:41]
	global_atomic_cmpswap_b64 v[0:1], v[38:39], v[0:3], off glc
	s_waitcnt vmcnt(0)
	v_cmp_eq_u64_e32 vcc_lo, v[0:1], v[2:3]
	v_dual_mov_b32 v3, v1 :: v_dual_mov_b32 v2, v0
	s_or_b32 s11, vcc_lo, s11
	s_delay_alu instid0(SALU_CYCLE_1)
	s_and_not1_b32 exec_lo, exec_lo, s11
	s_cbranch_execnz .LBB8_40
; %bb.41:                               ;   in Loop: Header=BB8_15 Depth=2
	s_or_b32 exec_lo, exec_lo, s11
	v_add_co_u32 v38, vcc_lo, v42, v30
	v_add_co_ci_u32_e32 v39, vcc_lo, v43, v31, vcc_lo
	v_mul_f64 v[40:41], v[36:37], v[4:5]
	s_mov_b32 s11, 0
	global_load_b64 v[2:3], v[38:39], off
.LBB8_42:                               ;   Parent Loop BB8_13 Depth=1
                                        ;     Parent Loop BB8_15 Depth=2
                                        ; =>    This Inner Loop Header: Depth=3
	s_waitcnt vmcnt(0)
	v_add_f64 v[0:1], v[2:3], v[40:41]
	global_atomic_cmpswap_b64 v[0:1], v[38:39], v[0:3], off glc
	s_waitcnt vmcnt(0)
	v_cmp_eq_u64_e32 vcc_lo, v[0:1], v[2:3]
	v_dual_mov_b32 v3, v1 :: v_dual_mov_b32 v2, v0
	s_or_b32 s11, vcc_lo, s11
	s_delay_alu instid0(SALU_CYCLE_1)
	s_and_not1_b32 exec_lo, exec_lo, s11
	s_cbranch_execnz .LBB8_42
; %bb.43:                               ;   in Loop: Header=BB8_15 Depth=2
	s_or_b32 exec_lo, exec_lo, s11
	v_add_co_u32 v38, vcc_lo, v42, v32
	v_add_co_ci_u32_e32 v39, vcc_lo, v43, v33, vcc_lo
	v_mul_f64 v[40:41], v[36:37], v[10:11]
	s_mov_b32 s11, 0
	global_load_b64 v[2:3], v[38:39], off
.LBB8_44:                               ;   Parent Loop BB8_13 Depth=1
                                        ;     Parent Loop BB8_15 Depth=2
                                        ; =>    This Inner Loop Header: Depth=3
	s_waitcnt vmcnt(0)
	v_add_f64 v[0:1], v[2:3], v[40:41]
	global_atomic_cmpswap_b64 v[0:1], v[38:39], v[0:3], off glc
	s_waitcnt vmcnt(0)
	v_cmp_eq_u64_e32 vcc_lo, v[0:1], v[2:3]
	v_dual_mov_b32 v3, v1 :: v_dual_mov_b32 v2, v0
	s_or_b32 s11, vcc_lo, s11
	s_delay_alu instid0(SALU_CYCLE_1)
	s_and_not1_b32 exec_lo, exec_lo, s11
	s_cbranch_execnz .LBB8_44
	;; [unrolled: 20-line block ×3, first 2 shown]
; %bb.47:                               ;   in Loop: Header=BB8_15 Depth=2
	s_or_b32 exec_lo, exec_lo, s11
	s_add_i32 s10, s10, 1
	s_delay_alu instid0(SALU_CYCLE_1)
	s_cmp_eq_u32 s10, s6
	s_cbranch_scc0 .LBB8_15
	s_branch .LBB8_12
.LBB8_48:
	s_mov_b32 s2, 0
.LBB8_49:
	s_delay_alu instid0(SALU_CYCLE_1)
	s_and_b32 vcc_lo, exec_lo, s2
	s_cbranch_vccz .LBB8_55
; %bb.50:
	s_cmp_lt_i32 s4, 1
	s_cbranch_scc1 .LBB8_55
; %bb.51:
	s_clause 0x1
	s_load_b256 s[8:15], s[0:1], 0x90
	s_load_b256 s[16:23], s[0:1], 0x48
	v_ashrrev_i32_e32 v4, 31, v44
	s_clause 0x1
	s_load_b64 s[2:3], s[0:1], 0x20
	s_load_b64 s[0:1], s[0:1], 0x68
	v_ashrrev_i32_e32 v6, 31, v45
	s_cmp_gt_i32 s6, 0
	s_mov_b32 s5, 0
	s_cselect_b32 s7, -1, 0
	s_waitcnt lgkmcnt(0)
	v_mul_lo_u32 v8, s13, v44
	v_mul_lo_u32 v9, s12, v4
	v_mad_u64_u32 v[0:1], null, s12, v44, 0
	v_mul_lo_u32 v12, s21, v44
	v_mul_lo_u32 v13, s20, v4
	v_mad_u64_u32 v[4:5], null, s20, v44, 0
	;; [unrolled: 3-line block ×3, first 2 shown]
	v_add3_u32 v1, v1, v9, v8
	v_mul_lo_u32 v14, s23, v45
	v_mul_lo_u32 v15, s22, v6
	v_mad_u64_u32 v[6:7], null, s22, v45, 0
	v_add3_u32 v5, v5, v13, v12
	v_lshlrev_b64 v[0:1], 3, v[0:1]
	v_add3_u32 v3, v3, v11, v10
	s_lshl_b64 s[8:9], s[8:9], 3
	s_lshl_b64 s[10:11], s[10:11], 3
	v_lshlrev_b64 v[4:5], 3, v[4:5]
	v_add3_u32 v7, v7, v15, v14
	v_lshlrev_b64 v[2:3], 3, v[2:3]
	v_add_co_u32 v0, vcc_lo, s0, v0
	v_add_co_ci_u32_e32 v1, vcc_lo, s1, v1, vcc_lo
	s_delay_alu instid0(VALU_DEP_4) | instskip(SKIP_4) | instid1(VALU_DEP_4)
	v_lshlrev_b64 v[6:7], 3, v[6:7]
	v_add_co_u32 v4, vcc_lo, s2, v4
	v_add_co_ci_u32_e32 v5, vcc_lo, s3, v5, vcc_lo
	v_add_co_u32 v0, vcc_lo, v0, v2
	v_add_co_ci_u32_e32 v1, vcc_lo, v1, v3, vcc_lo
	v_add_co_u32 v2, vcc_lo, v4, v6
	s_delay_alu instid0(VALU_DEP_4)
	v_add_co_ci_u32_e32 v3, vcc_lo, v5, v7, vcc_lo
	s_lshl_b64 s[0:1], s[16:17], 3
	s_lshl_b64 s[2:3], s[18:19], 3
	s_set_inst_prefetch_distance 0x1
	s_branch .LBB8_53
	.p2align	6
.LBB8_52:                               ;   in Loop: Header=BB8_53 Depth=1
	v_add_co_u32 v2, vcc_lo, v2, s0
	v_add_co_ci_u32_e32 v3, vcc_lo, s1, v3, vcc_lo
	v_add_co_u32 v0, vcc_lo, v0, s8
	v_add_co_ci_u32_e32 v1, vcc_lo, s9, v1, vcc_lo
	s_add_i32 s5, s5, 1
	s_delay_alu instid0(SALU_CYCLE_1)
	s_cmp_eq_u32 s5, s4
	s_cbranch_scc1 .LBB8_55
.LBB8_53:                               ; =>This Loop Header: Depth=1
                                        ;     Child Loop BB8_54 Depth 2
	s_delay_alu instid0(VALU_DEP_1)
	v_dual_mov_b32 v5, v1 :: v_dual_mov_b32 v4, v0
	v_dual_mov_b32 v7, v3 :: v_dual_mov_b32 v6, v2
	s_and_not1_b32 vcc_lo, exec_lo, s7
	s_mov_b32 s12, s6
	s_cbranch_vccnz .LBB8_52
.LBB8_54:                               ;   Parent Loop BB8_53 Depth=1
                                        ; =>  This Inner Loop Header: Depth=2
	global_load_b64 v[8:9], v[4:5], off
	v_add_co_u32 v4, vcc_lo, v4, s10
	v_add_co_ci_u32_e32 v5, vcc_lo, s11, v5, vcc_lo
	s_add_i32 s12, s12, -1
	s_delay_alu instid0(SALU_CYCLE_1)
	s_cmp_eq_u32 s12, 0
	s_waitcnt vmcnt(0)
	global_store_b64 v[6:7], v[8:9], off
	v_add_co_u32 v6, vcc_lo, v6, s2
	v_add_co_ci_u32_e32 v7, vcc_lo, s3, v7, vcc_lo
	s_cbranch_scc0 .LBB8_54
	s_branch .LBB8_52
.LBB8_55:
	s_set_inst_prefetch_distance 0x2
	s_nop 0
	s_sendmsg sendmsg(MSG_DEALLOC_VGPRS)
	s_endpgm
	.section	.rodata,"a",@progbits
	.p2align	6, 0x0
	.amdhsa_kernel _ZN2at6native12_GLOBAL__N_137upsample_bicubic2d_backward_out_frameIddEEviT0_S3_bN5torch10headeronly6detail27GenericPackedTensorAccessorINS6_14TensorAccessorIN3c108ArrayRefIlEET_Lm3ENS5_16DefaultPtrTraitsElEENS_6detail16IndexBoundsCheckILm4ElEESC_Lm4ESD_lEENS7_INS8_ISB_KSC_Lm3ESD_lEESH_SJ_Lm4ESD_lEE
		.amdhsa_group_segment_fixed_size 0
		.amdhsa_private_segment_fixed_size 0
		.amdhsa_kernarg_size 432
		.amdhsa_user_sgpr_count 15
		.amdhsa_user_sgpr_dispatch_ptr 0
		.amdhsa_user_sgpr_queue_ptr 0
		.amdhsa_user_sgpr_kernarg_segment_ptr 1
		.amdhsa_user_sgpr_dispatch_id 0
		.amdhsa_user_sgpr_private_segment_size 0
		.amdhsa_wavefront_size32 1
		.amdhsa_uses_dynamic_stack 0
		.amdhsa_enable_private_segment 0
		.amdhsa_system_sgpr_workgroup_id_x 1
		.amdhsa_system_sgpr_workgroup_id_y 0
		.amdhsa_system_sgpr_workgroup_id_z 0
		.amdhsa_system_sgpr_workgroup_info 0
		.amdhsa_system_vgpr_workitem_id 0
		.amdhsa_next_free_vgpr 64
		.amdhsa_next_free_sgpr 26
		.amdhsa_reserve_vcc 1
		.amdhsa_float_round_mode_32 0
		.amdhsa_float_round_mode_16_64 0
		.amdhsa_float_denorm_mode_32 3
		.amdhsa_float_denorm_mode_16_64 3
		.amdhsa_dx10_clamp 1
		.amdhsa_ieee_mode 1
		.amdhsa_fp16_overflow 0
		.amdhsa_workgroup_processor_mode 1
		.amdhsa_memory_ordered 1
		.amdhsa_forward_progress 0
		.amdhsa_shared_vgpr_count 0
		.amdhsa_exception_fp_ieee_invalid_op 0
		.amdhsa_exception_fp_denorm_src 0
		.amdhsa_exception_fp_ieee_div_zero 0
		.amdhsa_exception_fp_ieee_overflow 0
		.amdhsa_exception_fp_ieee_underflow 0
		.amdhsa_exception_fp_ieee_inexact 0
		.amdhsa_exception_int_div_zero 0
	.end_amdhsa_kernel
	.section	.text._ZN2at6native12_GLOBAL__N_137upsample_bicubic2d_backward_out_frameIddEEviT0_S3_bN5torch10headeronly6detail27GenericPackedTensorAccessorINS6_14TensorAccessorIN3c108ArrayRefIlEET_Lm3ENS5_16DefaultPtrTraitsElEENS_6detail16IndexBoundsCheckILm4ElEESC_Lm4ESD_lEENS7_INS8_ISB_KSC_Lm3ESD_lEESH_SJ_Lm4ESD_lEE,"axG",@progbits,_ZN2at6native12_GLOBAL__N_137upsample_bicubic2d_backward_out_frameIddEEviT0_S3_bN5torch10headeronly6detail27GenericPackedTensorAccessorINS6_14TensorAccessorIN3c108ArrayRefIlEET_Lm3ENS5_16DefaultPtrTraitsElEENS_6detail16IndexBoundsCheckILm4ElEESC_Lm4ESD_lEENS7_INS8_ISB_KSC_Lm3ESD_lEESH_SJ_Lm4ESD_lEE,comdat
.Lfunc_end8:
	.size	_ZN2at6native12_GLOBAL__N_137upsample_bicubic2d_backward_out_frameIddEEviT0_S3_bN5torch10headeronly6detail27GenericPackedTensorAccessorINS6_14TensorAccessorIN3c108ArrayRefIlEET_Lm3ENS5_16DefaultPtrTraitsElEENS_6detail16IndexBoundsCheckILm4ElEESC_Lm4ESD_lEENS7_INS8_ISB_KSC_Lm3ESD_lEESH_SJ_Lm4ESD_lEE, .Lfunc_end8-_ZN2at6native12_GLOBAL__N_137upsample_bicubic2d_backward_out_frameIddEEviT0_S3_bN5torch10headeronly6detail27GenericPackedTensorAccessorINS6_14TensorAccessorIN3c108ArrayRefIlEET_Lm3ENS5_16DefaultPtrTraitsElEENS_6detail16IndexBoundsCheckILm4ElEESC_Lm4ESD_lEENS7_INS8_ISB_KSC_Lm3ESD_lEESH_SJ_Lm4ESD_lEE
                                        ; -- End function
	.section	.AMDGPU.csdata,"",@progbits
; Kernel info:
; codeLenInByte = 3612
; NumSgprs: 28
; NumVgprs: 64
; ScratchSize: 0
; MemoryBound: 0
; FloatMode: 240
; IeeeMode: 1
; LDSByteSize: 0 bytes/workgroup (compile time only)
; SGPRBlocks: 3
; VGPRBlocks: 7
; NumSGPRsForWavesPerEU: 28
; NumVGPRsForWavesPerEU: 64
; Occupancy: 16
; WaveLimiterHint : 1
; COMPUTE_PGM_RSRC2:SCRATCH_EN: 0
; COMPUTE_PGM_RSRC2:USER_SGPR: 15
; COMPUTE_PGM_RSRC2:TRAP_HANDLER: 0
; COMPUTE_PGM_RSRC2:TGID_X_EN: 1
; COMPUTE_PGM_RSRC2:TGID_Y_EN: 0
; COMPUTE_PGM_RSRC2:TGID_Z_EN: 0
; COMPUTE_PGM_RSRC2:TIDIG_COMP_CNT: 0
	.section	.text._ZN2at6native12_GLOBAL__N_137upsample_bicubic2d_backward_out_frameIffEEviT0_S3_bN5torch10headeronly6detail27GenericPackedTensorAccessorINS6_14TensorAccessorIN3c108ArrayRefIlEET_Lm3ENS5_16DefaultPtrTraitsElEENS_6detail16IndexBoundsCheckILm4ElEESC_Lm4ESD_lEENS7_INS8_ISB_KSC_Lm3ESD_lEESH_SJ_Lm4ESD_lEE,"axG",@progbits,_ZN2at6native12_GLOBAL__N_137upsample_bicubic2d_backward_out_frameIffEEviT0_S3_bN5torch10headeronly6detail27GenericPackedTensorAccessorINS6_14TensorAccessorIN3c108ArrayRefIlEET_Lm3ENS5_16DefaultPtrTraitsElEENS_6detail16IndexBoundsCheckILm4ElEESC_Lm4ESD_lEENS7_INS8_ISB_KSC_Lm3ESD_lEESH_SJ_Lm4ESD_lEE,comdat
	.globl	_ZN2at6native12_GLOBAL__N_137upsample_bicubic2d_backward_out_frameIffEEviT0_S3_bN5torch10headeronly6detail27GenericPackedTensorAccessorINS6_14TensorAccessorIN3c108ArrayRefIlEET_Lm3ENS5_16DefaultPtrTraitsElEENS_6detail16IndexBoundsCheckILm4ElEESC_Lm4ESD_lEENS7_INS8_ISB_KSC_Lm3ESD_lEESH_SJ_Lm4ESD_lEE ; -- Begin function _ZN2at6native12_GLOBAL__N_137upsample_bicubic2d_backward_out_frameIffEEviT0_S3_bN5torch10headeronly6detail27GenericPackedTensorAccessorINS6_14TensorAccessorIN3c108ArrayRefIlEET_Lm3ENS5_16DefaultPtrTraitsElEENS_6detail16IndexBoundsCheckILm4ElEESC_Lm4ESD_lEENS7_INS8_ISB_KSC_Lm3ESD_lEESH_SJ_Lm4ESD_lEE
	.p2align	8
	.type	_ZN2at6native12_GLOBAL__N_137upsample_bicubic2d_backward_out_frameIffEEviT0_S3_bN5torch10headeronly6detail27GenericPackedTensorAccessorINS6_14TensorAccessorIN3c108ArrayRefIlEET_Lm3ENS5_16DefaultPtrTraitsElEENS_6detail16IndexBoundsCheckILm4ElEESC_Lm4ESD_lEENS7_INS8_ISB_KSC_Lm3ESD_lEESH_SJ_Lm4ESD_lEE,@function
_ZN2at6native12_GLOBAL__N_137upsample_bicubic2d_backward_out_frameIffEEviT0_S3_bN5torch10headeronly6detail27GenericPackedTensorAccessorINS6_14TensorAccessorIN3c108ArrayRefIlEET_Lm3ENS5_16DefaultPtrTraitsElEENS_6detail16IndexBoundsCheckILm4ElEESC_Lm4ESD_lEENS7_INS8_ISB_KSC_Lm3ESD_lEESH_SJ_Lm4ESD_lEE: ; @_ZN2at6native12_GLOBAL__N_137upsample_bicubic2d_backward_out_frameIffEEviT0_S3_bN5torch10headeronly6detail27GenericPackedTensorAccessorINS6_14TensorAccessorIN3c108ArrayRefIlEET_Lm3ENS5_16DefaultPtrTraitsElEENS_6detail16IndexBoundsCheckILm4ElEESC_Lm4ESD_lEENS7_INS8_ISB_KSC_Lm3ESD_lEESH_SJ_Lm4ESD_lEE
; %bb.0:
	s_clause 0x1
	s_load_b32 s2, s[0:1], 0xac
	s_load_b128 s[20:23], s[0:1], 0x0
	s_waitcnt lgkmcnt(0)
	s_and_b32 s2, s2, 0xffff
	s_delay_alu instid0(SALU_CYCLE_1) | instskip(SKIP_1) | instid1(VALU_DEP_1)
	v_mad_u64_u32 v[1:2], null, s15, s2, v[0:1]
	s_mov_b32 s2, exec_lo
	v_cmpx_gt_i32_e64 s20, v1
	s_cbranch_execz .LBB9_47
; %bb.1:
	s_load_b128 s[12:15], s[0:1], 0x70
	v_sub_nc_u32_e32 v3, 0, v1
	s_load_b256 s[4:11], s[0:1], 0x18
	s_delay_alu instid0(VALU_DEP_1) | instskip(SKIP_2) | instid1(SALU_CYCLE_1)
	v_max_i32_e32 v3, v1, v3
	s_waitcnt lgkmcnt(0)
	s_abs_i32 s2, s14
	v_cvt_f32_u32_e32 v0, s2
	s_sub_i32 s3, 0, s2
	s_cmp_lg_u32 s8, s12
	s_delay_alu instid0(VALU_DEP_1) | instskip(SKIP_2) | instid1(VALU_DEP_1)
	v_rcp_iflag_f32_e32 v0, v0
	s_waitcnt_depctr 0xfff
	v_mul_f32_e32 v0, 0x4f7ffffe, v0
	v_cvt_u32_f32_e32 v0, v0
	s_delay_alu instid0(VALU_DEP_1) | instskip(NEXT) | instid1(VALU_DEP_1)
	v_mul_lo_u32 v2, s3, v0
	v_mul_hi_u32 v2, v0, v2
	s_delay_alu instid0(VALU_DEP_1) | instskip(NEXT) | instid1(VALU_DEP_1)
	v_add_nc_u32_e32 v0, v0, v2
	v_mul_hi_u32 v0, v3, v0
	s_delay_alu instid0(VALU_DEP_1) | instskip(NEXT) | instid1(VALU_DEP_1)
	v_mul_lo_u32 v2, v0, s2
	v_sub_nc_u32_e32 v2, v3, v2
	v_add_nc_u32_e32 v3, 1, v0
	s_delay_alu instid0(VALU_DEP_2) | instskip(SKIP_1) | instid1(VALU_DEP_3)
	v_subrev_nc_u32_e32 v4, s2, v2
	v_cmp_le_u32_e32 vcc_lo, s2, v2
	v_cndmask_b32_e32 v0, v0, v3, vcc_lo
	s_delay_alu instid0(VALU_DEP_3) | instskip(SKIP_1) | instid1(VALU_DEP_3)
	v_cndmask_b32_e32 v2, v2, v4, vcc_lo
	v_xor_b32_e32 v3, s14, v1
	v_add_nc_u32_e32 v4, 1, v0
	s_delay_alu instid0(VALU_DEP_3) | instskip(NEXT) | instid1(VALU_DEP_3)
	v_cmp_le_u32_e32 vcc_lo, s2, v2
	v_ashrrev_i32_e32 v3, 31, v3
	s_cselect_b32 s2, -1, 0
	s_cmp_lg_u32 s10, s14
	v_cndmask_b32_e32 v0, v0, v4, vcc_lo
	s_cselect_b32 s3, -1, 0
	s_delay_alu instid0(SALU_CYCLE_1) | instskip(NEXT) | instid1(VALU_DEP_1)
	s_or_b32 s2, s3, s2
	v_xor_b32_e32 v0, v0, v3
	s_and_b32 vcc_lo, exec_lo, s2
	s_mov_b32 s2, -1
	s_delay_alu instid0(VALU_DEP_1) | instskip(NEXT) | instid1(VALU_DEP_1)
	v_sub_nc_u32_e32 v20, v0, v3
	v_mul_lo_u32 v0, v20, s14
	s_delay_alu instid0(VALU_DEP_1)
	v_sub_nc_u32_e32 v21, v1, v0
	s_cbranch_vccz .LBB9_41
; %bb.2:
	s_cmp_lt_i32 s4, 1
	s_cbranch_scc1 .LBB9_40
; %bb.3:
	s_delay_alu instid0(VALU_DEP_1) | instskip(SKIP_4) | instid1(VALU_DEP_1)
	v_cvt_f32_i32_e32 v0, v21
	v_cvt_f32_i32_e32 v1, v20
	s_bitcmp1_b32 s23, 0
	s_load_b256 s[12:19], s[0:1], 0x80
	s_cselect_b32 vcc_lo, -1, 0
	v_dual_add_f32 v2, 0.5, v0 :: v_dual_add_f32 v3, 0.5, v1
	v_dual_mul_f32 v0, s22, v0 :: v_dual_mul_f32 v1, s21, v1
	s_mov_b32 s3, 0x3fa00000
	s_delay_alu instid0(VALU_DEP_2) | instskip(NEXT) | instid1(VALU_DEP_3)
	v_fma_f32 v2, v2, s22, -0.5
	v_fma_f32 v3, v3, s21, -0.5
	s_mov_b32 s2, 0xbf400000
	s_load_b256 s[20:27], s[0:1], 0x38
	s_cmp_gt_i32 s6, 0
	s_delay_alu instid0(VALU_DEP_1) | instskip(SKIP_3) | instid1(VALU_DEP_2)
	v_dual_cndmask_b32 v2, v2, v0 :: v_dual_cndmask_b32 v3, v3, v1
	v_ashrrev_i32_e32 v1, 31, v20
	s_cselect_b32 s5, -1, 0
	s_add_i32 s7, s8, -1
	v_floor_f32_e32 v0, v2
	v_floor_f32_e32 v4, v3
	s_add_i32 s8, s10, -1
	s_waitcnt lgkmcnt(0)
	v_mul_lo_u32 v6, s17, v20
	v_mul_lo_u32 v7, s16, v1
	v_cvt_i32_f32_e32 v5, v0
	v_cvt_i32_f32_e32 v14, v4
	v_mad_u64_u32 v[0:1], null, s16, v20, 0
	s_load_b64 s[16:17], s[0:1], 0x58
	s_delay_alu instid0(VALU_DEP_3) | instskip(NEXT) | instid1(VALU_DEP_3)
	v_cvt_f32_i32_e32 v4, v5
	v_cvt_f32_i32_e32 v8, v14
	v_minmax_i32 v34, v5, s8, 0
	s_delay_alu instid0(VALU_DEP_4) | instskip(NEXT) | instid1(VALU_DEP_3)
	v_add3_u32 v1, v1, v7, v6
	v_sub_f32_e32 v3, v3, v8
	v_sub_f32_e32 v2, v2, v4
	s_delay_alu instid0(VALU_DEP_3) | instskip(NEXT) | instid1(VALU_DEP_2)
	v_lshlrev_b64 v[0:1], 2, v[0:1]
	v_dual_fmaak_f32 v9, s3, v3, 0xc0100000 :: v_dual_add_f32 v4, 1.0, v2
	v_dual_sub_f32 v7, 1.0, v2 :: v_dual_add_f32 v8, 1.0, v3
	v_fmaak_f32 v6, s3, v2, 0xc0100000
	s_delay_alu instid0(VALU_DEP_3) | instskip(NEXT) | instid1(VALU_DEP_3)
	v_dual_sub_f32 v10, 1.0, v3 :: v_dual_fmaak_f32 v11, s2, v4, 0x40700000
	v_dual_fmaak_f32 v12, s3, v7, 0xc0100000 :: v_dual_mul_f32 v9, v3, v9
	s_delay_alu instid0(VALU_DEP_3) | instskip(SKIP_1) | instid1(VALU_DEP_4)
	v_dual_add_f32 v13, 1.0, v7 :: v_dual_mul_f32 v6, v2, v6
	v_fmaak_f32 v15, s2, v8, 0x40700000
	v_fmaak_f32 v16, s3, v10, 0xc0100000
	v_add_f32_e32 v17, 1.0, v10
	v_fma_f32 v23, v3, v9, 1.0
	v_fma_f32 v22, v2, v6, 1.0
	v_mul_f32_e32 v2, v7, v12
	v_dual_fmaak_f32 v6, s2, v13, 0x40700000 :: v_dual_mul_f32 v3, v10, v16
	v_fmaak_f32 v11, v4, v11, 0xc0c00000
	v_fmaak_f32 v12, v8, v15, 0xc0c00000
	;; [unrolled: 1-line block ×3, first 2 shown]
	v_fma_f32 v25, v7, v2, 1.0
	v_ashrrev_i32_e32 v2, 31, v21
	v_fmaak_f32 v24, v4, v11, 0x40400000
	v_fmaak_f32 v4, v13, v6, 0xc0c00000
	v_dual_fmaak_f32 v6, v17, v15, 0xc0c00000 :: v_dual_add_nc_u32 v7, -1, v14
	v_fmaak_f32 v26, v8, v12, 0x40400000
	v_add_nc_u32_e32 v8, -1, v5
	v_fma_f32 v27, v10, v3, 1.0
	v_fmaak_f32 v28, v13, v4, 0x40400000
	v_fmaak_f32 v29, v17, v6, 0x40400000
	v_mul_lo_u32 v4, s19, v21
	v_mul_lo_u32 v6, s18, v2
	v_mad_u64_u32 v[2:3], null, s18, v21, 0
	v_minmax_i32 v15, v8, s8, 0
	v_minmax_i32 v7, v7, s7, 0
	s_waitcnt lgkmcnt(0)
	v_add_co_u32 v39, vcc_lo, s16, v0
	v_add_co_ci_u32_e32 v40, vcc_lo, s17, v1, vcc_lo
	v_mad_u64_u32 v[8:9], null, s26, v15, 0
	v_add3_u32 v3, v3, v6, v4
	v_add_nc_u32_e32 v4, 1, v5
	v_mad_u64_u32 v[0:1], null, s24, v7, 0
	v_mad_u64_u32 v[10:11], null, s26, v34, 0
	s_delay_alu instid0(VALU_DEP_4) | instskip(NEXT) | instid1(VALU_DEP_4)
	v_lshlrev_b64 v[16:17], 2, v[2:3]
	v_minmax_i32 v35, v4, s8, 0
	v_mov_b32_e32 v2, v9
	v_add_nc_u32_e32 v6, 2, v5
	s_load_b64 s[2:3], s[0:1], 0x10
	s_delay_alu instid0(VALU_DEP_3) | instskip(NEXT) | instid1(VALU_DEP_3)
	v_mad_u64_u32 v[12:13], null, s26, v35, 0
	v_mad_u64_u32 v[3:4], null, s25, v7, v[1:2]
	v_mov_b32_e32 v1, v11
	v_minmax_i32 v9, v6, s8, 0
	v_minmax_i32 v11, v14, s7, 0
	s_delay_alu instid0(VALU_DEP_4) | instskip(SKIP_1) | instid1(VALU_DEP_1)
	v_mad_u64_u32 v[4:5], null, s27, v15, v[2:3]
	v_dual_mov_b32 v2, v13 :: v_dual_add_nc_u32 v5, 1, v14
	v_mad_u64_u32 v[32:33], null, s27, v34, v[1:2]
	v_mad_u64_u32 v[33:34], null, s27, v35, v[2:3]
	v_add_nc_u32_e32 v6, 2, v14
	s_delay_alu instid0(VALU_DEP_4) | instskip(SKIP_1) | instid1(VALU_DEP_3)
	v_minmax_i32 v13, v5, s7, 0
	v_mad_u64_u32 v[14:15], null, s26, v9, 0
	v_minmax_i32 v38, v6, s7, 0
	v_mad_u64_u32 v[5:6], null, s24, v11, 0
	s_delay_alu instid0(VALU_DEP_4) | instskip(NEXT) | instid1(VALU_DEP_3)
	v_mad_u64_u32 v[18:19], null, s24, v13, 0
	v_mad_u64_u32 v[30:31], null, s24, v38, 0
	v_mov_b32_e32 v2, v15
	s_mov_b32 s7, 0
	s_delay_alu instid0(VALU_DEP_3) | instskip(NEXT) | instid1(VALU_DEP_3)
	v_dual_mov_b32 v1, v6 :: v_dual_mov_b32 v6, v19
	v_mov_b32_e32 v7, v31
	s_delay_alu instid0(VALU_DEP_2) | instskip(SKIP_2) | instid1(VALU_DEP_4)
	v_mad_u64_u32 v[34:35], null, s25, v11, v[1:2]
	v_mov_b32_e32 v1, v3
	v_mov_b32_e32 v11, v32
	v_mad_u64_u32 v[35:36], null, s25, v13, v[6:7]
	v_mad_u64_u32 v[36:37], null, s25, v38, v[7:8]
	v_dual_mov_b32 v6, v34 :: v_dual_mov_b32 v13, v33
	v_lshlrev_b64 v[0:1], 2, v[0:1]
	v_lshlrev_b64 v[10:11], 2, v[10:11]
	v_mov_b32_e32 v19, v35
	v_mov_b32_e32 v31, v36
	v_mad_u64_u32 v[37:38], null, s27, v9, v[2:3]
	v_mov_b32_e32 v9, v4
	v_lshlrev_b64 v[2:3], 2, v[5:6]
	s_delay_alu instid0(VALU_DEP_4)
	v_lshlrev_b64 v[6:7], 2, v[30:31]
	v_add_co_u32 v30, vcc_lo, v39, v16
	v_lshlrev_b64 v[4:5], 2, v[18:19]
	v_mov_b32_e32 v15, v37
	v_lshlrev_b64 v[8:9], 2, v[8:9]
	v_lshlrev_b64 v[12:13], 2, v[12:13]
	v_add_co_ci_u32_e32 v31, vcc_lo, v40, v17, vcc_lo
	s_delay_alu instid0(VALU_DEP_4)
	v_lshlrev_b64 v[14:15], 2, v[14:15]
	s_branch .LBB9_5
.LBB9_4:                                ;   in Loop: Header=BB9_5 Depth=1
	s_add_i32 s7, s7, 1
	s_delay_alu instid0(SALU_CYCLE_1)
	s_cmp_eq_u32 s7, s4
	s_cbranch_scc1 .LBB9_40
.LBB9_5:                                ; =>This Loop Header: Depth=1
                                        ;     Child Loop BB9_7 Depth 2
                                        ;       Child Loop BB9_8 Depth 3
                                        ;       Child Loop BB9_10 Depth 3
	;; [unrolled: 1-line block ×16, first 2 shown]
	s_and_not1_b32 vcc_lo, exec_lo, s5
	s_cbranch_vccnz .LBB9_4
; %bb.6:                                ;   in Loop: Header=BB9_5 Depth=1
	s_mul_i32 s8, s13, s7
	s_mul_hi_u32 s9, s12, s7
	s_mul_i32 s10, s21, s7
	s_add_i32 s9, s9, s8
	s_mul_i32 s8, s12, s7
	s_mul_hi_u32 s11, s20, s7
	s_lshl_b64 s[8:9], s[8:9], 2
	s_add_i32 s11, s11, s10
	s_mul_i32 s10, s20, s7
	v_add_co_u32 v32, vcc_lo, v30, s8
	s_lshl_b64 s[10:11], s[10:11], 2
	v_add_co_ci_u32_e32 v33, vcc_lo, s9, v31, vcc_lo
	s_waitcnt lgkmcnt(0)
	s_add_u32 s8, s2, s10
	s_addc_u32 s9, s3, s11
	s_mov_b32 s10, 0
.LBB9_7:                                ;   Parent Loop BB9_5 Depth=1
                                        ; =>  This Loop Header: Depth=2
                                        ;       Child Loop BB9_8 Depth 3
                                        ;       Child Loop BB9_10 Depth 3
	;; [unrolled: 1-line block ×16, first 2 shown]
	s_delay_alu instid0(SALU_CYCLE_1)
	s_mul_i32 s11, s15, s10
	s_mul_hi_u32 s17, s14, s10
	s_mul_i32 s16, s14, s10
	s_add_i32 s17, s17, s11
	s_mul_i32 s11, s23, s10
	s_lshl_b64 s[16:17], s[16:17], 2
	s_mul_hi_u32 s18, s22, s10
	v_add_co_u32 v16, vcc_lo, v32, s16
	v_add_co_ci_u32_e32 v17, vcc_lo, s17, v33, vcc_lo
	s_add_i32 s17, s18, s11
	s_mul_i32 s16, s22, s10
	s_delay_alu instid0(SALU_CYCLE_1)
	s_lshl_b64 s[16:17], s[16:17], 2
	global_load_b32 v34, v[16:17], off
	s_add_u32 s11, s8, s16
	s_addc_u32 s16, s9, s17
	v_add_co_u32 v35, vcc_lo, s11, v0
	v_add_co_ci_u32_e32 v36, vcc_lo, s16, v1, vcc_lo
	s_mov_b32 s17, 0
	s_delay_alu instid0(VALU_DEP_2) | instskip(NEXT) | instid1(VALU_DEP_2)
	v_add_co_u32 v16, vcc_lo, v35, v8
	v_add_co_ci_u32_e32 v17, vcc_lo, v36, v9, vcc_lo
	global_load_b32 v19, v[16:17], off
	s_waitcnt vmcnt(1)
	v_mul_f32_e32 v37, v34, v26
	s_delay_alu instid0(VALU_DEP_1)
	v_mul_f32_e32 v38, v37, v24
.LBB9_8:                                ;   Parent Loop BB9_5 Depth=1
                                        ;     Parent Loop BB9_7 Depth=2
                                        ; =>    This Inner Loop Header: Depth=3
	s_waitcnt vmcnt(0)
	s_delay_alu instid0(VALU_DEP_1)
	v_add_f32_e32 v18, v19, v38
	global_atomic_cmpswap_b32 v18, v[16:17], v[18:19], off glc
	s_waitcnt vmcnt(0)
	v_cmp_eq_u32_e32 vcc_lo, v18, v19
	v_mov_b32_e32 v19, v18
	s_or_b32 s17, vcc_lo, s17
	s_delay_alu instid0(SALU_CYCLE_1)
	s_and_not1_b32 exec_lo, exec_lo, s17
	s_cbranch_execnz .LBB9_8
; %bb.9:                                ;   in Loop: Header=BB9_7 Depth=2
	s_or_b32 exec_lo, exec_lo, s17
	v_add_co_u32 v16, vcc_lo, v35, v10
	v_add_co_ci_u32_e32 v17, vcc_lo, v36, v11, vcc_lo
	v_mul_f32_e32 v38, v37, v22
	s_mov_b32 s17, 0
	global_load_b32 v19, v[16:17], off
.LBB9_10:                               ;   Parent Loop BB9_5 Depth=1
                                        ;     Parent Loop BB9_7 Depth=2
                                        ; =>    This Inner Loop Header: Depth=3
	s_waitcnt vmcnt(0)
	v_add_f32_e32 v18, v19, v38
	global_atomic_cmpswap_b32 v18, v[16:17], v[18:19], off glc
	s_waitcnt vmcnt(0)
	v_cmp_eq_u32_e32 vcc_lo, v18, v19
	v_mov_b32_e32 v19, v18
	s_or_b32 s17, vcc_lo, s17
	s_delay_alu instid0(SALU_CYCLE_1)
	s_and_not1_b32 exec_lo, exec_lo, s17
	s_cbranch_execnz .LBB9_10
; %bb.11:                               ;   in Loop: Header=BB9_7 Depth=2
	s_or_b32 exec_lo, exec_lo, s17
	v_add_co_u32 v16, vcc_lo, v35, v12
	v_add_co_ci_u32_e32 v17, vcc_lo, v36, v13, vcc_lo
	v_mul_f32_e32 v38, v37, v25
	s_mov_b32 s17, 0
	global_load_b32 v19, v[16:17], off
.LBB9_12:                               ;   Parent Loop BB9_5 Depth=1
                                        ;     Parent Loop BB9_7 Depth=2
                                        ; =>    This Inner Loop Header: Depth=3
	s_waitcnt vmcnt(0)
	v_add_f32_e32 v18, v19, v38
	global_atomic_cmpswap_b32 v18, v[16:17], v[18:19], off glc
	s_waitcnt vmcnt(0)
	v_cmp_eq_u32_e32 vcc_lo, v18, v19
	v_mov_b32_e32 v19, v18
	s_or_b32 s17, vcc_lo, s17
	s_delay_alu instid0(SALU_CYCLE_1)
	s_and_not1_b32 exec_lo, exec_lo, s17
	s_cbranch_execnz .LBB9_12
; %bb.13:                               ;   in Loop: Header=BB9_7 Depth=2
	;; [unrolled: 20-line block ×3, first 2 shown]
	s_or_b32 exec_lo, exec_lo, s17
	v_add_co_u32 v35, vcc_lo, s11, v2
	v_add_co_ci_u32_e32 v36, vcc_lo, s16, v3, vcc_lo
	v_mul_f32_e32 v37, v34, v23
	s_delay_alu instid0(VALU_DEP_3) | instskip(NEXT) | instid1(VALU_DEP_3)
	v_add_co_u32 v16, vcc_lo, v35, v8
	v_add_co_ci_u32_e32 v17, vcc_lo, v36, v9, vcc_lo
	s_delay_alu instid0(VALU_DEP_3)
	v_mul_f32_e32 v38, v37, v24
	s_mov_b32 s17, 0
	global_load_b32 v19, v[16:17], off
.LBB9_16:                               ;   Parent Loop BB9_5 Depth=1
                                        ;     Parent Loop BB9_7 Depth=2
                                        ; =>    This Inner Loop Header: Depth=3
	s_waitcnt vmcnt(0)
	v_add_f32_e32 v18, v19, v38
	global_atomic_cmpswap_b32 v18, v[16:17], v[18:19], off glc
	s_waitcnt vmcnt(0)
	v_cmp_eq_u32_e32 vcc_lo, v18, v19
	v_mov_b32_e32 v19, v18
	s_or_b32 s17, vcc_lo, s17
	s_delay_alu instid0(SALU_CYCLE_1)
	s_and_not1_b32 exec_lo, exec_lo, s17
	s_cbranch_execnz .LBB9_16
; %bb.17:                               ;   in Loop: Header=BB9_7 Depth=2
	s_or_b32 exec_lo, exec_lo, s17
	v_add_co_u32 v16, vcc_lo, v35, v10
	v_add_co_ci_u32_e32 v17, vcc_lo, v36, v11, vcc_lo
	v_mul_f32_e32 v38, v37, v22
	s_mov_b32 s17, 0
	global_load_b32 v19, v[16:17], off
.LBB9_18:                               ;   Parent Loop BB9_5 Depth=1
                                        ;     Parent Loop BB9_7 Depth=2
                                        ; =>    This Inner Loop Header: Depth=3
	s_waitcnt vmcnt(0)
	v_add_f32_e32 v18, v19, v38
	global_atomic_cmpswap_b32 v18, v[16:17], v[18:19], off glc
	s_waitcnt vmcnt(0)
	v_cmp_eq_u32_e32 vcc_lo, v18, v19
	v_mov_b32_e32 v19, v18
	s_or_b32 s17, vcc_lo, s17
	s_delay_alu instid0(SALU_CYCLE_1)
	s_and_not1_b32 exec_lo, exec_lo, s17
	s_cbranch_execnz .LBB9_18
; %bb.19:                               ;   in Loop: Header=BB9_7 Depth=2
	s_or_b32 exec_lo, exec_lo, s17
	v_add_co_u32 v16, vcc_lo, v35, v12
	v_add_co_ci_u32_e32 v17, vcc_lo, v36, v13, vcc_lo
	;; [unrolled: 20-line block ×4, first 2 shown]
	v_mul_f32_e32 v37, v34, v27
	s_delay_alu instid0(VALU_DEP_3) | instskip(NEXT) | instid1(VALU_DEP_3)
	v_add_co_u32 v16, vcc_lo, v35, v8
	v_add_co_ci_u32_e32 v17, vcc_lo, v36, v9, vcc_lo
	s_delay_alu instid0(VALU_DEP_3)
	v_mul_f32_e32 v38, v37, v24
	s_mov_b32 s17, 0
	global_load_b32 v19, v[16:17], off
.LBB9_24:                               ;   Parent Loop BB9_5 Depth=1
                                        ;     Parent Loop BB9_7 Depth=2
                                        ; =>    This Inner Loop Header: Depth=3
	s_waitcnt vmcnt(0)
	v_add_f32_e32 v18, v19, v38
	global_atomic_cmpswap_b32 v18, v[16:17], v[18:19], off glc
	s_waitcnt vmcnt(0)
	v_cmp_eq_u32_e32 vcc_lo, v18, v19
	v_mov_b32_e32 v19, v18
	s_or_b32 s17, vcc_lo, s17
	s_delay_alu instid0(SALU_CYCLE_1)
	s_and_not1_b32 exec_lo, exec_lo, s17
	s_cbranch_execnz .LBB9_24
; %bb.25:                               ;   in Loop: Header=BB9_7 Depth=2
	s_or_b32 exec_lo, exec_lo, s17
	v_add_co_u32 v16, vcc_lo, v35, v10
	v_add_co_ci_u32_e32 v17, vcc_lo, v36, v11, vcc_lo
	v_mul_f32_e32 v38, v37, v22
	s_mov_b32 s17, 0
	global_load_b32 v19, v[16:17], off
.LBB9_26:                               ;   Parent Loop BB9_5 Depth=1
                                        ;     Parent Loop BB9_7 Depth=2
                                        ; =>    This Inner Loop Header: Depth=3
	s_waitcnt vmcnt(0)
	v_add_f32_e32 v18, v19, v38
	global_atomic_cmpswap_b32 v18, v[16:17], v[18:19], off glc
	s_waitcnt vmcnt(0)
	v_cmp_eq_u32_e32 vcc_lo, v18, v19
	v_mov_b32_e32 v19, v18
	s_or_b32 s17, vcc_lo, s17
	s_delay_alu instid0(SALU_CYCLE_1)
	s_and_not1_b32 exec_lo, exec_lo, s17
	s_cbranch_execnz .LBB9_26
; %bb.27:                               ;   in Loop: Header=BB9_7 Depth=2
	s_or_b32 exec_lo, exec_lo, s17
	v_add_co_u32 v16, vcc_lo, v35, v12
	v_add_co_ci_u32_e32 v17, vcc_lo, v36, v13, vcc_lo
	;; [unrolled: 20-line block ×4, first 2 shown]
	v_mul_f32_e32 v34, v34, v29
	s_delay_alu instid0(VALU_DEP_3) | instskip(NEXT) | instid1(VALU_DEP_3)
	v_add_co_u32 v16, vcc_lo, v35, v8
	v_add_co_ci_u32_e32 v17, vcc_lo, v36, v9, vcc_lo
	s_delay_alu instid0(VALU_DEP_3)
	v_mul_f32_e32 v37, v34, v24
	s_mov_b32 s11, 0
	global_load_b32 v19, v[16:17], off
.LBB9_32:                               ;   Parent Loop BB9_5 Depth=1
                                        ;     Parent Loop BB9_7 Depth=2
                                        ; =>    This Inner Loop Header: Depth=3
	s_waitcnt vmcnt(0)
	v_add_f32_e32 v18, v19, v37
	global_atomic_cmpswap_b32 v18, v[16:17], v[18:19], off glc
	s_waitcnt vmcnt(0)
	v_cmp_eq_u32_e32 vcc_lo, v18, v19
	v_mov_b32_e32 v19, v18
	s_or_b32 s11, vcc_lo, s11
	s_delay_alu instid0(SALU_CYCLE_1)
	s_and_not1_b32 exec_lo, exec_lo, s11
	s_cbranch_execnz .LBB9_32
; %bb.33:                               ;   in Loop: Header=BB9_7 Depth=2
	s_or_b32 exec_lo, exec_lo, s11
	v_add_co_u32 v16, vcc_lo, v35, v10
	v_add_co_ci_u32_e32 v17, vcc_lo, v36, v11, vcc_lo
	v_mul_f32_e32 v37, v34, v22
	s_mov_b32 s11, 0
	global_load_b32 v19, v[16:17], off
.LBB9_34:                               ;   Parent Loop BB9_5 Depth=1
                                        ;     Parent Loop BB9_7 Depth=2
                                        ; =>    This Inner Loop Header: Depth=3
	s_waitcnt vmcnt(0)
	v_add_f32_e32 v18, v19, v37
	global_atomic_cmpswap_b32 v18, v[16:17], v[18:19], off glc
	s_waitcnt vmcnt(0)
	v_cmp_eq_u32_e32 vcc_lo, v18, v19
	v_mov_b32_e32 v19, v18
	s_or_b32 s11, vcc_lo, s11
	s_delay_alu instid0(SALU_CYCLE_1)
	s_and_not1_b32 exec_lo, exec_lo, s11
	s_cbranch_execnz .LBB9_34
; %bb.35:                               ;   in Loop: Header=BB9_7 Depth=2
	s_or_b32 exec_lo, exec_lo, s11
	v_add_co_u32 v16, vcc_lo, v35, v12
	v_add_co_ci_u32_e32 v17, vcc_lo, v36, v13, vcc_lo
	;; [unrolled: 20-line block ×3, first 2 shown]
	v_mul_f32_e32 v34, v34, v28
	s_mov_b32 s11, 0
	global_load_b32 v19, v[16:17], off
.LBB9_38:                               ;   Parent Loop BB9_5 Depth=1
                                        ;     Parent Loop BB9_7 Depth=2
                                        ; =>    This Inner Loop Header: Depth=3
	s_waitcnt vmcnt(0)
	v_add_f32_e32 v18, v19, v34
	global_atomic_cmpswap_b32 v18, v[16:17], v[18:19], off glc
	s_waitcnt vmcnt(0)
	v_cmp_eq_u32_e32 vcc_lo, v18, v19
	v_mov_b32_e32 v19, v18
	s_or_b32 s11, vcc_lo, s11
	s_delay_alu instid0(SALU_CYCLE_1)
	s_and_not1_b32 exec_lo, exec_lo, s11
	s_cbranch_execnz .LBB9_38
; %bb.39:                               ;   in Loop: Header=BB9_7 Depth=2
	s_or_b32 exec_lo, exec_lo, s11
	s_add_i32 s10, s10, 1
	s_delay_alu instid0(SALU_CYCLE_1)
	s_cmp_eq_u32 s10, s6
	s_cbranch_scc0 .LBB9_7
	s_branch .LBB9_4
.LBB9_40:
	s_waitcnt lgkmcnt(0)
	s_mov_b32 s2, 0
.LBB9_41:
	s_delay_alu instid0(SALU_CYCLE_1)
	s_and_not1_b32 vcc_lo, exec_lo, s2
	s_cbranch_vccnz .LBB9_47
; %bb.42:
	s_cmp_lt_i32 s4, 1
	s_cbranch_scc1 .LBB9_47
; %bb.43:
	s_clause 0x1
	s_load_b256 s[8:15], s[0:1], 0x80
	s_load_b256 s[16:23], s[0:1], 0x38
	v_ashrrev_i32_e32 v4, 31, v20
	s_clause 0x1
	s_load_b64 s[2:3], s[0:1], 0x10
	s_load_b64 s[0:1], s[0:1], 0x58
	v_ashrrev_i32_e32 v6, 31, v21
	s_cmp_gt_i32 s6, 0
	s_mov_b32 s5, 0
	s_cselect_b32 s7, -1, 0
	s_waitcnt lgkmcnt(0)
	v_mul_lo_u32 v8, s13, v20
	v_mul_lo_u32 v9, s12, v4
	v_mad_u64_u32 v[0:1], null, s12, v20, 0
	v_mul_lo_u32 v12, s21, v20
	v_mul_lo_u32 v13, s20, v4
	v_mad_u64_u32 v[4:5], null, s20, v20, 0
	;; [unrolled: 3-line block ×3, first 2 shown]
	v_add3_u32 v1, v1, v9, v8
	v_mul_lo_u32 v14, s23, v21
	v_mul_lo_u32 v15, s22, v6
	v_mad_u64_u32 v[6:7], null, s22, v21, 0
	v_add3_u32 v5, v5, v13, v12
	v_lshlrev_b64 v[0:1], 2, v[0:1]
	v_add3_u32 v3, v3, v11, v10
	s_lshl_b64 s[8:9], s[8:9], 2
	s_lshl_b64 s[10:11], s[10:11], 2
	v_lshlrev_b64 v[4:5], 2, v[4:5]
	v_add3_u32 v7, v7, v15, v14
	v_lshlrev_b64 v[2:3], 2, v[2:3]
	v_add_co_u32 v0, vcc_lo, s0, v0
	v_add_co_ci_u32_e32 v1, vcc_lo, s1, v1, vcc_lo
	s_delay_alu instid0(VALU_DEP_4) | instskip(SKIP_4) | instid1(VALU_DEP_4)
	v_lshlrev_b64 v[6:7], 2, v[6:7]
	v_add_co_u32 v4, vcc_lo, s2, v4
	v_add_co_ci_u32_e32 v5, vcc_lo, s3, v5, vcc_lo
	v_add_co_u32 v0, vcc_lo, v0, v2
	v_add_co_ci_u32_e32 v1, vcc_lo, v1, v3, vcc_lo
	v_add_co_u32 v2, vcc_lo, v4, v6
	s_delay_alu instid0(VALU_DEP_4)
	v_add_co_ci_u32_e32 v3, vcc_lo, v5, v7, vcc_lo
	s_lshl_b64 s[0:1], s[16:17], 2
	s_lshl_b64 s[2:3], s[18:19], 2
	s_set_inst_prefetch_distance 0x1
	s_branch .LBB9_45
	.p2align	6
.LBB9_44:                               ;   in Loop: Header=BB9_45 Depth=1
	v_add_co_u32 v2, vcc_lo, v2, s0
	v_add_co_ci_u32_e32 v3, vcc_lo, s1, v3, vcc_lo
	v_add_co_u32 v0, vcc_lo, v0, s8
	v_add_co_ci_u32_e32 v1, vcc_lo, s9, v1, vcc_lo
	s_add_i32 s5, s5, 1
	s_delay_alu instid0(SALU_CYCLE_1)
	s_cmp_eq_u32 s5, s4
	s_cbranch_scc1 .LBB9_47
.LBB9_45:                               ; =>This Loop Header: Depth=1
                                        ;     Child Loop BB9_46 Depth 2
	s_delay_alu instid0(VALU_DEP_1)
	v_dual_mov_b32 v5, v1 :: v_dual_mov_b32 v4, v0
	v_dual_mov_b32 v7, v3 :: v_dual_mov_b32 v6, v2
	s_and_not1_b32 vcc_lo, exec_lo, s7
	s_mov_b32 s12, s6
	s_cbranch_vccnz .LBB9_44
.LBB9_46:                               ;   Parent Loop BB9_45 Depth=1
                                        ; =>  This Inner Loop Header: Depth=2
	global_load_b32 v8, v[4:5], off
	v_add_co_u32 v4, vcc_lo, v4, s10
	v_add_co_ci_u32_e32 v5, vcc_lo, s11, v5, vcc_lo
	s_add_i32 s12, s12, -1
	s_delay_alu instid0(SALU_CYCLE_1)
	s_cmp_eq_u32 s12, 0
	s_waitcnt vmcnt(0)
	global_store_b32 v[6:7], v8, off
	v_add_co_u32 v6, vcc_lo, v6, s2
	v_add_co_ci_u32_e32 v7, vcc_lo, s3, v7, vcc_lo
	s_cbranch_scc0 .LBB9_46
	s_branch .LBB9_44
.LBB9_47:
	s_set_inst_prefetch_distance 0x2
	s_nop 0
	s_sendmsg sendmsg(MSG_DEALLOC_VGPRS)
	s_endpgm
	.section	.rodata,"a",@progbits
	.p2align	6, 0x0
	.amdhsa_kernel _ZN2at6native12_GLOBAL__N_137upsample_bicubic2d_backward_out_frameIffEEviT0_S3_bN5torch10headeronly6detail27GenericPackedTensorAccessorINS6_14TensorAccessorIN3c108ArrayRefIlEET_Lm3ENS5_16DefaultPtrTraitsElEENS_6detail16IndexBoundsCheckILm4ElEESC_Lm4ESD_lEENS7_INS8_ISB_KSC_Lm3ESD_lEESH_SJ_Lm4ESD_lEE
		.amdhsa_group_segment_fixed_size 0
		.amdhsa_private_segment_fixed_size 0
		.amdhsa_kernarg_size 416
		.amdhsa_user_sgpr_count 15
		.amdhsa_user_sgpr_dispatch_ptr 0
		.amdhsa_user_sgpr_queue_ptr 0
		.amdhsa_user_sgpr_kernarg_segment_ptr 1
		.amdhsa_user_sgpr_dispatch_id 0
		.amdhsa_user_sgpr_private_segment_size 0
		.amdhsa_wavefront_size32 1
		.amdhsa_uses_dynamic_stack 0
		.amdhsa_enable_private_segment 0
		.amdhsa_system_sgpr_workgroup_id_x 1
		.amdhsa_system_sgpr_workgroup_id_y 0
		.amdhsa_system_sgpr_workgroup_id_z 0
		.amdhsa_system_sgpr_workgroup_info 0
		.amdhsa_system_vgpr_workitem_id 0
		.amdhsa_next_free_vgpr 41
		.amdhsa_next_free_sgpr 28
		.amdhsa_reserve_vcc 1
		.amdhsa_float_round_mode_32 0
		.amdhsa_float_round_mode_16_64 0
		.amdhsa_float_denorm_mode_32 3
		.amdhsa_float_denorm_mode_16_64 3
		.amdhsa_dx10_clamp 1
		.amdhsa_ieee_mode 1
		.amdhsa_fp16_overflow 0
		.amdhsa_workgroup_processor_mode 1
		.amdhsa_memory_ordered 1
		.amdhsa_forward_progress 0
		.amdhsa_shared_vgpr_count 0
		.amdhsa_exception_fp_ieee_invalid_op 0
		.amdhsa_exception_fp_denorm_src 0
		.amdhsa_exception_fp_ieee_div_zero 0
		.amdhsa_exception_fp_ieee_overflow 0
		.amdhsa_exception_fp_ieee_underflow 0
		.amdhsa_exception_fp_ieee_inexact 0
		.amdhsa_exception_int_div_zero 0
	.end_amdhsa_kernel
	.section	.text._ZN2at6native12_GLOBAL__N_137upsample_bicubic2d_backward_out_frameIffEEviT0_S3_bN5torch10headeronly6detail27GenericPackedTensorAccessorINS6_14TensorAccessorIN3c108ArrayRefIlEET_Lm3ENS5_16DefaultPtrTraitsElEENS_6detail16IndexBoundsCheckILm4ElEESC_Lm4ESD_lEENS7_INS8_ISB_KSC_Lm3ESD_lEESH_SJ_Lm4ESD_lEE,"axG",@progbits,_ZN2at6native12_GLOBAL__N_137upsample_bicubic2d_backward_out_frameIffEEviT0_S3_bN5torch10headeronly6detail27GenericPackedTensorAccessorINS6_14TensorAccessorIN3c108ArrayRefIlEET_Lm3ENS5_16DefaultPtrTraitsElEENS_6detail16IndexBoundsCheckILm4ElEESC_Lm4ESD_lEENS7_INS8_ISB_KSC_Lm3ESD_lEESH_SJ_Lm4ESD_lEE,comdat
.Lfunc_end9:
	.size	_ZN2at6native12_GLOBAL__N_137upsample_bicubic2d_backward_out_frameIffEEviT0_S3_bN5torch10headeronly6detail27GenericPackedTensorAccessorINS6_14TensorAccessorIN3c108ArrayRefIlEET_Lm3ENS5_16DefaultPtrTraitsElEENS_6detail16IndexBoundsCheckILm4ElEESC_Lm4ESD_lEENS7_INS8_ISB_KSC_Lm3ESD_lEESH_SJ_Lm4ESD_lEE, .Lfunc_end9-_ZN2at6native12_GLOBAL__N_137upsample_bicubic2d_backward_out_frameIffEEviT0_S3_bN5torch10headeronly6detail27GenericPackedTensorAccessorINS6_14TensorAccessorIN3c108ArrayRefIlEET_Lm3ENS5_16DefaultPtrTraitsElEENS_6detail16IndexBoundsCheckILm4ElEESC_Lm4ESD_lEENS7_INS8_ISB_KSC_Lm3ESD_lEESH_SJ_Lm4ESD_lEE
                                        ; -- End function
	.section	.AMDGPU.csdata,"",@progbits
; Kernel info:
; codeLenInByte = 3184
; NumSgprs: 30
; NumVgprs: 41
; ScratchSize: 0
; MemoryBound: 0
; FloatMode: 240
; IeeeMode: 1
; LDSByteSize: 0 bytes/workgroup (compile time only)
; SGPRBlocks: 3
; VGPRBlocks: 5
; NumSGPRsForWavesPerEU: 30
; NumVGPRsForWavesPerEU: 41
; Occupancy: 16
; WaveLimiterHint : 1
; COMPUTE_PGM_RSRC2:SCRATCH_EN: 0
; COMPUTE_PGM_RSRC2:USER_SGPR: 15
; COMPUTE_PGM_RSRC2:TRAP_HANDLER: 0
; COMPUTE_PGM_RSRC2:TGID_X_EN: 1
; COMPUTE_PGM_RSRC2:TGID_Y_EN: 0
; COMPUTE_PGM_RSRC2:TGID_Z_EN: 0
; COMPUTE_PGM_RSRC2:TIDIG_COMP_CNT: 0
	.section	.text._ZN2at6native12_GLOBAL__N_137upsample_bicubic2d_backward_out_frameIN3c104HalfEfEEviT0_S5_bN5torch10headeronly6detail27GenericPackedTensorAccessorINS8_14TensorAccessorINS3_8ArrayRefIlEET_Lm3ENS7_16DefaultPtrTraitsElEENS_6detail16IndexBoundsCheckILm4ElEESD_Lm4ESE_lEENS9_INSA_ISC_KSD_Lm3ESE_lEESI_SK_Lm4ESE_lEE,"axG",@progbits,_ZN2at6native12_GLOBAL__N_137upsample_bicubic2d_backward_out_frameIN3c104HalfEfEEviT0_S5_bN5torch10headeronly6detail27GenericPackedTensorAccessorINS8_14TensorAccessorINS3_8ArrayRefIlEET_Lm3ENS7_16DefaultPtrTraitsElEENS_6detail16IndexBoundsCheckILm4ElEESD_Lm4ESE_lEENS9_INSA_ISC_KSD_Lm3ESE_lEESI_SK_Lm4ESE_lEE,comdat
	.globl	_ZN2at6native12_GLOBAL__N_137upsample_bicubic2d_backward_out_frameIN3c104HalfEfEEviT0_S5_bN5torch10headeronly6detail27GenericPackedTensorAccessorINS8_14TensorAccessorINS3_8ArrayRefIlEET_Lm3ENS7_16DefaultPtrTraitsElEENS_6detail16IndexBoundsCheckILm4ElEESD_Lm4ESE_lEENS9_INSA_ISC_KSD_Lm3ESE_lEESI_SK_Lm4ESE_lEE ; -- Begin function _ZN2at6native12_GLOBAL__N_137upsample_bicubic2d_backward_out_frameIN3c104HalfEfEEviT0_S5_bN5torch10headeronly6detail27GenericPackedTensorAccessorINS8_14TensorAccessorINS3_8ArrayRefIlEET_Lm3ENS7_16DefaultPtrTraitsElEENS_6detail16IndexBoundsCheckILm4ElEESD_Lm4ESE_lEENS9_INSA_ISC_KSD_Lm3ESE_lEESI_SK_Lm4ESE_lEE
	.p2align	8
	.type	_ZN2at6native12_GLOBAL__N_137upsample_bicubic2d_backward_out_frameIN3c104HalfEfEEviT0_S5_bN5torch10headeronly6detail27GenericPackedTensorAccessorINS8_14TensorAccessorINS3_8ArrayRefIlEET_Lm3ENS7_16DefaultPtrTraitsElEENS_6detail16IndexBoundsCheckILm4ElEESD_Lm4ESE_lEENS9_INSA_ISC_KSD_Lm3ESE_lEESI_SK_Lm4ESE_lEE,@function
_ZN2at6native12_GLOBAL__N_137upsample_bicubic2d_backward_out_frameIN3c104HalfEfEEviT0_S5_bN5torch10headeronly6detail27GenericPackedTensorAccessorINS8_14TensorAccessorINS3_8ArrayRefIlEET_Lm3ENS7_16DefaultPtrTraitsElEENS_6detail16IndexBoundsCheckILm4ElEESD_Lm4ESE_lEENS9_INSA_ISC_KSD_Lm3ESE_lEESI_SK_Lm4ESE_lEE: ; @_ZN2at6native12_GLOBAL__N_137upsample_bicubic2d_backward_out_frameIN3c104HalfEfEEviT0_S5_bN5torch10headeronly6detail27GenericPackedTensorAccessorINS8_14TensorAccessorINS3_8ArrayRefIlEET_Lm3ENS7_16DefaultPtrTraitsElEENS_6detail16IndexBoundsCheckILm4ElEESD_Lm4ESE_lEENS9_INSA_ISC_KSD_Lm3ESE_lEESI_SK_Lm4ESE_lEE
; %bb.0:
	s_clause 0x1
	s_load_b32 s2, s[0:1], 0xac
	s_load_b128 s[16:19], s[0:1], 0x0
	s_waitcnt lgkmcnt(0)
	s_and_b32 s2, s2, 0xffff
	s_delay_alu instid0(SALU_CYCLE_1) | instskip(SKIP_1) | instid1(VALU_DEP_1)
	v_mad_u64_u32 v[1:2], null, s15, s2, v[0:1]
	s_mov_b32 s2, exec_lo
	v_cmpx_gt_i32_e64 s16, v1
	s_cbranch_execz .LBB10_41
; %bb.1:
	s_load_b128 s[12:15], s[0:1], 0x70
	v_sub_nc_u32_e32 v3, 0, v1
	s_load_b256 s[4:11], s[0:1], 0x18
	s_delay_alu instid0(VALU_DEP_1) | instskip(SKIP_2) | instid1(SALU_CYCLE_1)
	v_max_i32_e32 v3, v1, v3
	s_waitcnt lgkmcnt(0)
	s_abs_i32 s2, s14
	v_cvt_f32_u32_e32 v0, s2
	s_sub_i32 s3, 0, s2
	s_cmp_lg_u32 s8, s12
	s_delay_alu instid0(VALU_DEP_1) | instskip(SKIP_2) | instid1(VALU_DEP_1)
	v_rcp_iflag_f32_e32 v0, v0
	s_waitcnt_depctr 0xfff
	v_mul_f32_e32 v0, 0x4f7ffffe, v0
	v_cvt_u32_f32_e32 v0, v0
	s_delay_alu instid0(VALU_DEP_1) | instskip(NEXT) | instid1(VALU_DEP_1)
	v_mul_lo_u32 v2, s3, v0
	v_mul_hi_u32 v2, v0, v2
	s_delay_alu instid0(VALU_DEP_1) | instskip(NEXT) | instid1(VALU_DEP_1)
	v_add_nc_u32_e32 v0, v0, v2
	v_mul_hi_u32 v0, v3, v0
	s_delay_alu instid0(VALU_DEP_1) | instskip(NEXT) | instid1(VALU_DEP_1)
	v_mul_lo_u32 v2, v0, s2
	v_sub_nc_u32_e32 v2, v3, v2
	v_add_nc_u32_e32 v3, 1, v0
	s_delay_alu instid0(VALU_DEP_2) | instskip(SKIP_1) | instid1(VALU_DEP_3)
	v_subrev_nc_u32_e32 v4, s2, v2
	v_cmp_le_u32_e32 vcc_lo, s2, v2
	v_cndmask_b32_e32 v0, v0, v3, vcc_lo
	s_delay_alu instid0(VALU_DEP_3) | instskip(SKIP_1) | instid1(VALU_DEP_3)
	v_cndmask_b32_e32 v2, v2, v4, vcc_lo
	v_xor_b32_e32 v3, s14, v1
	v_add_nc_u32_e32 v4, 1, v0
	s_delay_alu instid0(VALU_DEP_3) | instskip(NEXT) | instid1(VALU_DEP_3)
	v_cmp_le_u32_e32 vcc_lo, s2, v2
	v_ashrrev_i32_e32 v3, 31, v3
	s_cselect_b32 s2, -1, 0
	s_cmp_lg_u32 s10, s14
	v_cndmask_b32_e32 v0, v0, v4, vcc_lo
	s_cselect_b32 s3, -1, 0
	s_delay_alu instid0(SALU_CYCLE_1) | instskip(NEXT) | instid1(VALU_DEP_1)
	s_or_b32 s2, s3, s2
	v_xor_b32_e32 v0, v0, v3
	s_and_b32 vcc_lo, exec_lo, s2
	s_mov_b32 s2, -1
	s_delay_alu instid0(VALU_DEP_1) | instskip(NEXT) | instid1(VALU_DEP_1)
	v_sub_nc_u32_e32 v14, v0, v3
	v_mul_lo_u32 v0, v14, s14
	s_delay_alu instid0(VALU_DEP_1)
	v_sub_nc_u32_e32 v15, v1, v0
	s_cbranch_vccz .LBB10_35
; %bb.2:
	s_cmp_lt_i32 s4, 1
	s_cbranch_scc1 .LBB10_34
; %bb.3:
	s_delay_alu instid0(VALU_DEP_1) | instskip(SKIP_4) | instid1(VALU_DEP_1)
	v_cvt_f32_i32_e32 v0, v15
	v_cvt_f32_i32_e32 v1, v14
	s_bitcmp1_b32 s19, 0
	s_mov_b32 s9, 0x3fa00000
	s_cselect_b32 vcc_lo, -1, 0
	v_dual_add_f32 v2, 0.5, v0 :: v_dual_add_f32 v3, 0.5, v1
	v_dual_mul_f32 v0, s18, v0 :: v_dual_mul_f32 v1, s17, v1
	s_mov_b32 s7, 0xbf400000
	s_delay_alu instid0(VALU_DEP_2) | instskip(NEXT) | instid1(VALU_DEP_3)
	v_fma_f32 v2, v2, s18, -0.5
	v_fma_f32 v3, v3, s17, -0.5
	s_clause 0x2
	s_load_b256 s[12:19], s[0:1], 0x80
	s_load_b256 s[20:27], s[0:1], 0x38
	s_load_b64 s[2:3], s[0:1], 0x58
	v_dual_cndmask_b32 v0, v2, v0 :: v_dual_cndmask_b32 v1, v3, v1
	s_cmp_gt_i32 s6, 0
	s_cselect_b32 s5, -1, 0
	s_delay_alu instid0(VALU_DEP_1) | instskip(NEXT) | instid1(VALU_DEP_2)
	v_floor_f32_e32 v2, v0
	v_floor_f32_e32 v3, v1
	s_add_i32 s8, s8, -1
	s_delay_alu instid0(VALU_DEP_2) | instskip(NEXT) | instid1(VALU_DEP_2)
	v_cvt_i32_f32_e32 v6, v2
	v_cvt_i32_f32_e32 v26, v3
	v_ashrrev_i32_e32 v2, 31, v14
	s_delay_alu instid0(VALU_DEP_3) | instskip(NEXT) | instid1(VALU_DEP_3)
	v_cvt_f32_i32_e32 v3, v6
	v_cvt_f32_i32_e32 v4, v26
	s_waitcnt lgkmcnt(0)
	v_mul_lo_u32 v5, s17, v14
	v_mul_lo_u32 v2, s16, v2
	v_dual_sub_f32 v3, v0, v3 :: v_dual_add_nc_u32 v26, -1, v26
	v_sub_f32_e32 v4, v1, v4
	v_mad_u64_u32 v[0:1], null, s16, v14, 0
	s_delay_alu instid0(VALU_DEP_2) | instskip(SKIP_2) | instid1(VALU_DEP_2)
	v_dual_add_f32 v7, 1.0, v3 :: v_dual_add_f32 v10, 1.0, v4
	v_dual_fmaak_f32 v8, s9, v3, 0xc0100000 :: v_dual_fmaak_f32 v11, s9, v4, 0xc0100000
	v_dual_sub_f32 v9, 1.0, v3 :: v_dual_sub_f32 v12, 1.0, v4
	v_dual_fmaak_f32 v13, s7, v7, 0x40700000 :: v_dual_mul_f32 v8, v3, v8
	s_delay_alu instid0(VALU_DEP_4) | instskip(NEXT) | instid1(VALU_DEP_3)
	v_fmaak_f32 v18, s7, v10, 0x40700000
	v_dual_add_f32 v22, 1.0, v9 :: v_dual_mul_f32 v11, v4, v11
	s_delay_alu instid0(VALU_DEP_4) | instskip(SKIP_4) | instid1(VALU_DEP_4)
	v_fmaak_f32 v19, s9, v12, 0xc0100000
	v_fmaak_f32 v17, s9, v9, 0xc0100000
	v_add_f32_e32 v23, 1.0, v12
	v_dual_fmaak_f32 v13, v7, v13, 0xc0c00000 :: v_dual_fmaak_f32 v20, v10, v18, 0xc0c00000
	v_fma_f32 v16, v3, v8, 1.0
	v_dual_mul_f32 v3, v9, v17 :: v_dual_fmaak_f32 v8, s7, v22, 0x40700000
	v_fma_f32 v17, v4, v11, 1.0
	v_fmaak_f32 v11, s7, v23, 0x40700000
	v_fmaak_f32 v18, v7, v13, 0x40400000
	;; [unrolled: 1-line block ×3, first 2 shown]
	v_dual_fmaak_f32 v7, v22, v8, 0xc0c00000 :: v_dual_add_nc_u32 v10, 2, v6
	s_delay_alu instid0(VALU_DEP_4) | instskip(SKIP_3) | instid1(VALU_DEP_3)
	v_fmaak_f32 v8, v23, v11, 0xc0c00000
	s_add_i32 s7, s10, -1
	v_add3_u32 v1, v1, v2, v5
	v_minmax_i32 v25, v6, s7, 0
	v_dual_fmaak_f32 v22, v22, v7, 0x40400000 :: v_dual_fmaak_f32 v23, v23, v8, 0x40400000
	v_add_nc_u32_e32 v8, 1, v6
	v_mul_f32_e32 v4, v12, v19
	v_fma_f32 v19, v9, v3, 1.0
	v_add_nc_u32_e32 v3, -1, v6
	v_mul_lo_u32 v7, s19, v15
	v_minmax_i32 v30, v8, s7, 0
	v_fma_f32 v21, v12, v4, 1.0
	v_ashrrev_i32_e32 v4, 31, v15
	v_minmax_i32 v24, v3, s7, 0
	v_mad_u64_u32 v[2:3], null, s18, v15, 0
	v_minmax_i32 v31, v10, s7, 0
	s_delay_alu instid0(VALU_DEP_4) | instskip(NEXT) | instid1(VALU_DEP_4)
	v_mul_lo_u32 v9, s18, v4
	v_mad_u64_u32 v[4:5], null, s26, v24, 0
	v_lshlrev_b64 v[0:1], 1, v[0:1]
	s_delay_alu instid0(VALU_DEP_4) | instskip(SKIP_2) | instid1(VALU_DEP_4)
	v_mad_u64_u32 v[10:11], null, s26, v31, 0
	s_load_b64 s[10:11], s[0:1], 0x10
	s_mov_b32 s7, 0
	v_add3_u32 v3, v3, v9, v7
	v_mad_u64_u32 v[6:7], null, s26, v25, 0
	v_mad_u64_u32 v[8:9], null, s26, v30, 0
	v_add_co_u32 v32, vcc_lo, s2, v0
	v_add_co_ci_u32_e32 v33, vcc_lo, s3, v1, vcc_lo
	v_lshlrev_b64 v[0:1], 1, v[2:3]
	v_mad_u64_u32 v[12:13], null, s27, v24, v[5:6]
	v_dual_mov_b32 v2, v7 :: v_dual_mov_b32 v3, v9
	v_mov_b32_e32 v5, v11
	s_delay_alu instid0(VALU_DEP_4) | instskip(NEXT) | instid1(VALU_DEP_3)
	v_add_co_u32 v24, vcc_lo, v32, v0
	v_mad_u64_u32 v[27:28], null, s27, v25, v[2:3]
	v_mad_u64_u32 v[28:29], null, s27, v30, v[3:4]
	s_delay_alu instid0(VALU_DEP_4) | instskip(SKIP_4) | instid1(VALU_DEP_4)
	v_mad_u64_u32 v[2:3], null, s27, v31, v[5:6]
	v_mov_b32_e32 v5, v12
	v_add_co_ci_u32_e32 v25, vcc_lo, v33, v1, vcc_lo
	v_mov_b32_e32 v7, v27
	v_mov_b32_e32 v9, v28
	v_lshlrev_b64 v[0:1], 1, v[4:5]
	v_mov_b32_e32 v11, v2
	s_delay_alu instid0(VALU_DEP_4) | instskip(NEXT) | instid1(VALU_DEP_4)
	v_lshlrev_b64 v[2:3], 1, v[6:7]
	v_lshlrev_b64 v[4:5], 1, v[8:9]
	v_mov_b32_e32 v9, 0
	s_delay_alu instid0(VALU_DEP_4)
	v_lshlrev_b64 v[6:7], 1, v[10:11]
	s_branch .LBB10_5
.LBB10_4:                               ;   in Loop: Header=BB10_5 Depth=1
	s_add_i32 s7, s7, 1
	s_delay_alu instid0(SALU_CYCLE_1)
	s_cmp_eq_u32 s7, s4
	s_cbranch_scc1 .LBB10_34
.LBB10_5:                               ; =>This Loop Header: Depth=1
                                        ;     Child Loop BB10_8 Depth 2
                                        ;       Child Loop BB10_10 Depth 3
                                        ;         Child Loop BB10_12 Depth 4
                                        ;         Child Loop BB10_18 Depth 4
	;; [unrolled: 1-line block ×4, first 2 shown]
	s_and_not1_b32 vcc_lo, exec_lo, s5
	s_cbranch_vccnz .LBB10_4
; %bb.6:                                ;   in Loop: Header=BB10_5 Depth=1
	s_mul_i32 s2, s13, s7
	s_mul_hi_u32 s3, s12, s7
	s_mul_i32 s9, s21, s7
	s_add_i32 s3, s3, s2
	s_mul_i32 s2, s12, s7
	s_mul_hi_u32 s16, s20, s7
	s_lshl_b64 s[2:3], s[2:3], 1
	s_add_i32 s17, s16, s9
	s_mul_i32 s16, s20, s7
	v_add_co_u32 v27, vcc_lo, v24, s2
	s_lshl_b64 s[16:17], s[16:17], 1
	v_add_co_ci_u32_e32 v28, vcc_lo, s3, v25, vcc_lo
	s_waitcnt lgkmcnt(0)
	s_add_u32 s9, s10, s16
	s_addc_u32 s16, s11, s17
	s_mov_b32 s17, 0
	s_branch .LBB10_8
.LBB10_7:                               ;   in Loop: Header=BB10_8 Depth=2
	s_add_i32 s17, s17, 1
	s_delay_alu instid0(SALU_CYCLE_1)
	s_cmp_eq_u32 s17, s6
	s_cbranch_scc1 .LBB10_4
.LBB10_8:                               ;   Parent Loop BB10_5 Depth=1
                                        ; =>  This Loop Header: Depth=2
                                        ;       Child Loop BB10_10 Depth 3
                                        ;         Child Loop BB10_12 Depth 4
                                        ;         Child Loop BB10_18 Depth 4
                                        ;         Child Loop BB10_24 Depth 4
                                        ;         Child Loop BB10_30 Depth 4
	s_mul_i32 s3, s15, s17
	s_mul_hi_u32 s18, s14, s17
	s_mul_i32 s2, s14, s17
	s_add_i32 s3, s18, s3
	s_mov_b32 s26, 0
	s_lshl_b64 s[2:3], s[2:3], 1
	s_delay_alu instid0(SALU_CYCLE_1)
	v_add_co_u32 v10, vcc_lo, v27, s2
	v_add_co_ci_u32_e32 v11, vcc_lo, s3, v28, vcc_lo
	s_mul_i32 s2, s23, s17
	s_mul_hi_u32 s3, s22, s17
	global_load_u16 v8, v[10:11], off
	s_add_i32 s3, s3, s2
	s_mul_i32 s2, s22, s17
	s_delay_alu instid0(SALU_CYCLE_1) | instskip(NEXT) | instid1(SALU_CYCLE_1)
	s_lshl_b64 s[2:3], s[2:3], 1
	s_add_u32 s18, s9, s2
	s_addc_u32 s19, s16, s3
	s_waitcnt vmcnt(0)
	v_cvt_f32_f16_e32 v29, v8
	s_branch .LBB10_10
.LBB10_9:                               ;   in Loop: Header=BB10_10 Depth=3
	s_set_inst_prefetch_distance 0x2
	s_or_b32 exec_lo, exec_lo, s27
	s_add_i32 s26, s26, 1
	s_delay_alu instid0(SALU_CYCLE_1)
	s_cmp_eq_u32 s26, 4
	s_cbranch_scc1 .LBB10_7
.LBB10_10:                              ;   Parent Loop BB10_5 Depth=1
                                        ;     Parent Loop BB10_8 Depth=2
                                        ; =>    This Loop Header: Depth=3
                                        ;         Child Loop BB10_12 Depth 4
                                        ;         Child Loop BB10_18 Depth 4
                                        ;         Child Loop BB10_24 Depth 4
                                        ;         Child Loop BB10_30 Depth 4
	v_add_nc_u32_e32 v8, s26, v26
	s_cmp_eq_u32 s26, 1
	s_mov_b32 s27, 0
	s_delay_alu instid0(VALU_DEP_1) | instskip(NEXT) | instid1(VALU_DEP_1)
	v_minmax_i32 v13, v8, s8, 0
	v_mad_u64_u32 v[10:11], null, s24, v13, 0
	s_delay_alu instid0(VALU_DEP_1) | instskip(NEXT) | instid1(VALU_DEP_1)
	v_mov_b32_e32 v8, v11
	v_mad_u64_u32 v[11:12], null, s25, v13, v[8:9]
	s_delay_alu instid0(VALU_DEP_1) | instskip(NEXT) | instid1(VALU_DEP_1)
	v_lshlrev_b64 v[10:11], 1, v[10:11]
	v_add_co_u32 v30, vcc_lo, s18, v10
	s_delay_alu instid0(VALU_DEP_2) | instskip(NEXT) | instid1(VALU_DEP_2)
	v_add_co_ci_u32_e32 v31, vcc_lo, s19, v11, vcc_lo
	v_add_co_u32 v8, vcc_lo, v30, v0
	s_delay_alu instid0(VALU_DEP_2) | instskip(SKIP_1) | instid1(VALU_DEP_2)
	v_add_co_ci_u32_e32 v11, vcc_lo, v31, v1, vcc_lo
	s_cselect_b32 vcc_lo, -1, 0
	v_and_b32_e32 v10, -3, v8
	v_cndmask_b32_e32 v12, v20, v17, vcc_lo
	s_cmp_eq_u32 s26, 2
	v_and_b32_e32 v8, 2, v8
	s_cselect_b32 vcc_lo, -1, 0
	global_load_b32 v13, v[10:11], off
	v_cndmask_b32_e32 v12, v12, v21, vcc_lo
	s_cmp_eq_u32 s26, 3
	v_cmp_ne_u32_e64 s2, 0, v8
	s_cselect_b32 vcc_lo, -1, 0
	s_delay_alu instid0(VALU_DEP_2) | instskip(SKIP_1) | instid1(VALU_DEP_2)
	v_cndmask_b32_e32 v12, v12, v23, vcc_lo
	v_cmp_eq_u64_e32 vcc_lo, 0, v[8:9]
	v_mul_f32_e32 v32, v12, v29
	s_delay_alu instid0(VALU_DEP_1)
	v_fma_mixlo_f16 v33, v32, v18, 0
	s_set_inst_prefetch_distance 0x1
	s_branch .LBB10_12
	.p2align	6
.LBB10_11:                              ;   in Loop: Header=BB10_12 Depth=4
	s_or_b32 exec_lo, exec_lo, s3
	global_atomic_cmpswap_b32 v8, v[10:11], v[12:13], off glc
	s_waitcnt vmcnt(0)
	v_cmp_eq_u32_e64 s3, v13, v8
	v_mov_b32_e32 v13, v8
	s_delay_alu instid0(VALU_DEP_2) | instskip(NEXT) | instid1(SALU_CYCLE_1)
	s_or_b32 s27, s3, s27
	s_and_not1_b32 exec_lo, exec_lo, s27
	s_cbranch_execz .LBB10_16
.LBB10_12:                              ;   Parent Loop BB10_5 Depth=1
                                        ;     Parent Loop BB10_8 Depth=2
                                        ;       Parent Loop BB10_10 Depth=3
                                        ; =>      This Inner Loop Header: Depth=4
	s_waitcnt vmcnt(0)
	v_lshrrev_b32_e32 v8, 16, v13
	s_delay_alu instid0(VALU_DEP_1) | instskip(NEXT) | instid1(VALU_DEP_1)
	v_cndmask_b32_e32 v8, v8, v13, vcc_lo
	v_add_f16_e32 v8, v33, v8
	s_delay_alu instid0(VALU_DEP_1) | instskip(SKIP_1) | instid1(SALU_CYCLE_1)
	v_and_b32_e32 v8, 0xffff, v8
	s_and_saveexec_b32 s3, s2
	s_xor_b32 s3, exec_lo, s3
; %bb.13:                               ;   in Loop: Header=BB10_12 Depth=4
	v_and_b32_e32 v12, 0xffff, v13
	s_delay_alu instid0(VALU_DEP_1)
	v_lshl_or_b32 v12, v8, 16, v12
                                        ; implicit-def: $vgpr8
; %bb.14:                               ;   in Loop: Header=BB10_12 Depth=4
	s_and_not1_saveexec_b32 s3, s3
	s_cbranch_execz .LBB10_11
; %bb.15:                               ;   in Loop: Header=BB10_12 Depth=4
	v_and_or_b32 v12, 0xffff0000, v13, v8
	s_branch .LBB10_11
.LBB10_16:                              ;   in Loop: Header=BB10_10 Depth=3
	s_set_inst_prefetch_distance 0x2
	s_or_b32 exec_lo, exec_lo, s27
	v_add_co_u32 v8, vcc_lo, v30, v2
	v_add_co_ci_u32_e32 v11, vcc_lo, v31, v3, vcc_lo
	v_fma_mixlo_f16 v33, v32, v16, 0
	s_delay_alu instid0(VALU_DEP_3)
	v_and_b32_e32 v10, -3, v8
	v_and_b32_e32 v8, 2, v8
	s_mov_b32 s27, 0
	global_load_b32 v13, v[10:11], off
	v_cmp_eq_u64_e32 vcc_lo, 0, v[8:9]
	v_cmp_ne_u32_e64 s2, 0, v8
	s_set_inst_prefetch_distance 0x1
	s_branch .LBB10_18
	.p2align	6
.LBB10_17:                              ;   in Loop: Header=BB10_18 Depth=4
	s_or_b32 exec_lo, exec_lo, s3
	global_atomic_cmpswap_b32 v8, v[10:11], v[12:13], off glc
	s_waitcnt vmcnt(0)
	v_cmp_eq_u32_e64 s3, v13, v8
	v_mov_b32_e32 v13, v8
	s_delay_alu instid0(VALU_DEP_2) | instskip(NEXT) | instid1(SALU_CYCLE_1)
	s_or_b32 s27, s3, s27
	s_and_not1_b32 exec_lo, exec_lo, s27
	s_cbranch_execz .LBB10_22
.LBB10_18:                              ;   Parent Loop BB10_5 Depth=1
                                        ;     Parent Loop BB10_8 Depth=2
                                        ;       Parent Loop BB10_10 Depth=3
                                        ; =>      This Inner Loop Header: Depth=4
	s_waitcnt vmcnt(0)
	v_lshrrev_b32_e32 v8, 16, v13
	s_delay_alu instid0(VALU_DEP_1) | instskip(NEXT) | instid1(VALU_DEP_1)
	v_cndmask_b32_e32 v8, v8, v13, vcc_lo
	v_add_f16_e32 v8, v33, v8
	s_delay_alu instid0(VALU_DEP_1) | instskip(SKIP_1) | instid1(SALU_CYCLE_1)
	v_and_b32_e32 v8, 0xffff, v8
	s_and_saveexec_b32 s3, s2
	s_xor_b32 s3, exec_lo, s3
; %bb.19:                               ;   in Loop: Header=BB10_18 Depth=4
	v_and_b32_e32 v12, 0xffff, v13
	s_delay_alu instid0(VALU_DEP_1)
	v_lshl_or_b32 v12, v8, 16, v12
                                        ; implicit-def: $vgpr8
; %bb.20:                               ;   in Loop: Header=BB10_18 Depth=4
	s_and_not1_saveexec_b32 s3, s3
	s_cbranch_execz .LBB10_17
; %bb.21:                               ;   in Loop: Header=BB10_18 Depth=4
	v_and_or_b32 v12, 0xffff0000, v13, v8
	s_branch .LBB10_17
.LBB10_22:                              ;   in Loop: Header=BB10_10 Depth=3
	s_set_inst_prefetch_distance 0x2
	s_or_b32 exec_lo, exec_lo, s27
	v_add_co_u32 v8, vcc_lo, v30, v4
	v_add_co_ci_u32_e32 v11, vcc_lo, v31, v5, vcc_lo
	v_fma_mixlo_f16 v33, v32, v19, 0
	s_delay_alu instid0(VALU_DEP_3)
	v_and_b32_e32 v10, -3, v8
	v_and_b32_e32 v8, 2, v8
	s_mov_b32 s27, 0
	global_load_b32 v13, v[10:11], off
	v_cmp_eq_u64_e32 vcc_lo, 0, v[8:9]
	v_cmp_ne_u32_e64 s2, 0, v8
	s_set_inst_prefetch_distance 0x1
	s_branch .LBB10_24
	.p2align	6
.LBB10_23:                              ;   in Loop: Header=BB10_24 Depth=4
	s_or_b32 exec_lo, exec_lo, s3
	global_atomic_cmpswap_b32 v8, v[10:11], v[12:13], off glc
	s_waitcnt vmcnt(0)
	v_cmp_eq_u32_e64 s3, v13, v8
	v_mov_b32_e32 v13, v8
	s_delay_alu instid0(VALU_DEP_2) | instskip(NEXT) | instid1(SALU_CYCLE_1)
	s_or_b32 s27, s3, s27
	s_and_not1_b32 exec_lo, exec_lo, s27
	s_cbranch_execz .LBB10_28
.LBB10_24:                              ;   Parent Loop BB10_5 Depth=1
                                        ;     Parent Loop BB10_8 Depth=2
                                        ;       Parent Loop BB10_10 Depth=3
                                        ; =>      This Inner Loop Header: Depth=4
	s_waitcnt vmcnt(0)
	v_lshrrev_b32_e32 v8, 16, v13
	s_delay_alu instid0(VALU_DEP_1) | instskip(NEXT) | instid1(VALU_DEP_1)
	v_cndmask_b32_e32 v8, v8, v13, vcc_lo
	v_add_f16_e32 v8, v33, v8
	s_delay_alu instid0(VALU_DEP_1) | instskip(SKIP_1) | instid1(SALU_CYCLE_1)
	v_and_b32_e32 v8, 0xffff, v8
	s_and_saveexec_b32 s3, s2
	s_xor_b32 s3, exec_lo, s3
; %bb.25:                               ;   in Loop: Header=BB10_24 Depth=4
	v_and_b32_e32 v12, 0xffff, v13
	s_delay_alu instid0(VALU_DEP_1)
	v_lshl_or_b32 v12, v8, 16, v12
                                        ; implicit-def: $vgpr8
; %bb.26:                               ;   in Loop: Header=BB10_24 Depth=4
	s_and_not1_saveexec_b32 s3, s3
	s_cbranch_execz .LBB10_23
; %bb.27:                               ;   in Loop: Header=BB10_24 Depth=4
	v_and_or_b32 v12, 0xffff0000, v13, v8
	s_branch .LBB10_23
.LBB10_28:                              ;   in Loop: Header=BB10_10 Depth=3
	s_set_inst_prefetch_distance 0x2
	s_or_b32 exec_lo, exec_lo, s27
	v_add_co_u32 v8, vcc_lo, v30, v6
	v_add_co_ci_u32_e32 v11, vcc_lo, v31, v7, vcc_lo
	v_fma_mixlo_f16 v30, v32, v22, 0
	s_delay_alu instid0(VALU_DEP_3)
	v_and_b32_e32 v10, -3, v8
	v_and_b32_e32 v8, 2, v8
	s_mov_b32 s27, 0
	global_load_b32 v13, v[10:11], off
	v_cmp_eq_u64_e32 vcc_lo, 0, v[8:9]
	v_cmp_ne_u32_e64 s2, 0, v8
	s_set_inst_prefetch_distance 0x1
	s_branch .LBB10_30
	.p2align	6
.LBB10_29:                              ;   in Loop: Header=BB10_30 Depth=4
	s_or_b32 exec_lo, exec_lo, s3
	global_atomic_cmpswap_b32 v8, v[10:11], v[12:13], off glc
	s_waitcnt vmcnt(0)
	v_cmp_eq_u32_e64 s3, v13, v8
	v_mov_b32_e32 v13, v8
	s_delay_alu instid0(VALU_DEP_2) | instskip(NEXT) | instid1(SALU_CYCLE_1)
	s_or_b32 s27, s3, s27
	s_and_not1_b32 exec_lo, exec_lo, s27
	s_cbranch_execz .LBB10_9
.LBB10_30:                              ;   Parent Loop BB10_5 Depth=1
                                        ;     Parent Loop BB10_8 Depth=2
                                        ;       Parent Loop BB10_10 Depth=3
                                        ; =>      This Inner Loop Header: Depth=4
	s_waitcnt vmcnt(0)
	v_lshrrev_b32_e32 v8, 16, v13
	s_delay_alu instid0(VALU_DEP_1) | instskip(NEXT) | instid1(VALU_DEP_1)
	v_cndmask_b32_e32 v8, v8, v13, vcc_lo
	v_add_f16_e32 v8, v30, v8
	s_delay_alu instid0(VALU_DEP_1) | instskip(SKIP_1) | instid1(SALU_CYCLE_1)
	v_and_b32_e32 v8, 0xffff, v8
	s_and_saveexec_b32 s3, s2
	s_xor_b32 s3, exec_lo, s3
; %bb.31:                               ;   in Loop: Header=BB10_30 Depth=4
	v_and_b32_e32 v12, 0xffff, v13
	s_delay_alu instid0(VALU_DEP_1)
	v_lshl_or_b32 v12, v8, 16, v12
                                        ; implicit-def: $vgpr8
; %bb.32:                               ;   in Loop: Header=BB10_30 Depth=4
	s_and_not1_saveexec_b32 s3, s3
	s_cbranch_execz .LBB10_29
; %bb.33:                               ;   in Loop: Header=BB10_30 Depth=4
	v_and_or_b32 v12, 0xffff0000, v13, v8
	s_branch .LBB10_29
.LBB10_34:
	s_mov_b32 s2, 0
.LBB10_35:
	s_delay_alu instid0(SALU_CYCLE_1)
	s_and_not1_b32 vcc_lo, exec_lo, s2
	s_cbranch_vccnz .LBB10_41
; %bb.36:
	s_cmp_lt_i32 s4, 1
	s_cbranch_scc1 .LBB10_41
; %bb.37:
	s_waitcnt lgkmcnt(0)
	s_clause 0x1
	s_load_b256 s[8:15], s[0:1], 0x80
	s_load_b256 s[16:23], s[0:1], 0x38
	v_ashrrev_i32_e32 v4, 31, v14
	s_clause 0x1
	s_load_b64 s[2:3], s[0:1], 0x10
	s_load_b64 s[0:1], s[0:1], 0x58
	v_ashrrev_i32_e32 v6, 31, v15
	s_cmp_gt_i32 s6, 0
	s_mov_b32 s5, 0
	s_cselect_b32 s7, -1, 0
	s_waitcnt lgkmcnt(0)
	v_mul_lo_u32 v8, s13, v14
	v_mul_lo_u32 v9, s12, v4
	v_mad_u64_u32 v[0:1], null, s12, v14, 0
	v_mul_lo_u32 v12, s21, v14
	v_mul_lo_u32 v13, s20, v4
	v_mad_u64_u32 v[4:5], null, s20, v14, 0
	;; [unrolled: 3-line block ×3, first 2 shown]
	v_add3_u32 v1, v1, v9, v8
	v_mul_lo_u32 v14, s23, v15
	v_mul_lo_u32 v16, s22, v6
	v_mad_u64_u32 v[6:7], null, s22, v15, 0
	v_add3_u32 v5, v5, v13, v12
	v_lshlrev_b64 v[0:1], 1, v[0:1]
	v_add3_u32 v3, v3, v11, v10
	s_lshl_b64 s[8:9], s[8:9], 1
	s_lshl_b64 s[10:11], s[10:11], 1
	v_lshlrev_b64 v[4:5], 1, v[4:5]
	v_add3_u32 v7, v7, v16, v14
	v_lshlrev_b64 v[2:3], 1, v[2:3]
	v_add_co_u32 v0, vcc_lo, s0, v0
	v_add_co_ci_u32_e32 v1, vcc_lo, s1, v1, vcc_lo
	s_delay_alu instid0(VALU_DEP_4) | instskip(SKIP_4) | instid1(VALU_DEP_4)
	v_lshlrev_b64 v[6:7], 1, v[6:7]
	v_add_co_u32 v4, vcc_lo, s2, v4
	v_add_co_ci_u32_e32 v5, vcc_lo, s3, v5, vcc_lo
	v_add_co_u32 v0, vcc_lo, v0, v2
	v_add_co_ci_u32_e32 v1, vcc_lo, v1, v3, vcc_lo
	v_add_co_u32 v2, vcc_lo, v4, v6
	s_delay_alu instid0(VALU_DEP_4)
	v_add_co_ci_u32_e32 v3, vcc_lo, v5, v7, vcc_lo
	s_lshl_b64 s[0:1], s[16:17], 1
	s_lshl_b64 s[2:3], s[18:19], 1
	s_set_inst_prefetch_distance 0x1
	s_branch .LBB10_39
	.p2align	6
.LBB10_38:                              ;   in Loop: Header=BB10_39 Depth=1
	v_add_co_u32 v2, vcc_lo, v2, s0
	v_add_co_ci_u32_e32 v3, vcc_lo, s1, v3, vcc_lo
	v_add_co_u32 v0, vcc_lo, v0, s8
	v_add_co_ci_u32_e32 v1, vcc_lo, s9, v1, vcc_lo
	s_add_i32 s5, s5, 1
	s_delay_alu instid0(SALU_CYCLE_1)
	s_cmp_eq_u32 s5, s4
	s_cbranch_scc1 .LBB10_41
.LBB10_39:                              ; =>This Loop Header: Depth=1
                                        ;     Child Loop BB10_40 Depth 2
	s_delay_alu instid0(VALU_DEP_1)
	v_dual_mov_b32 v5, v1 :: v_dual_mov_b32 v4, v0
	v_dual_mov_b32 v7, v3 :: v_dual_mov_b32 v6, v2
	s_and_not1_b32 vcc_lo, exec_lo, s7
	s_mov_b32 s12, s6
	s_cbranch_vccnz .LBB10_38
.LBB10_40:                              ;   Parent Loop BB10_39 Depth=1
                                        ; =>  This Inner Loop Header: Depth=2
	global_load_u16 v8, v[4:5], off
	v_add_co_u32 v4, vcc_lo, v4, s10
	v_add_co_ci_u32_e32 v5, vcc_lo, s11, v5, vcc_lo
	s_add_i32 s12, s12, -1
	s_delay_alu instid0(SALU_CYCLE_1)
	s_cmp_eq_u32 s12, 0
	s_waitcnt vmcnt(0)
	global_store_b16 v[6:7], v8, off
	v_add_co_u32 v6, vcc_lo, v6, s2
	v_add_co_ci_u32_e32 v7, vcc_lo, s3, v7, vcc_lo
	s_cbranch_scc0 .LBB10_40
	s_branch .LBB10_38
.LBB10_41:
	s_set_inst_prefetch_distance 0x2
	s_nop 0
	s_sendmsg sendmsg(MSG_DEALLOC_VGPRS)
	s_endpgm
	.section	.rodata,"a",@progbits
	.p2align	6, 0x0
	.amdhsa_kernel _ZN2at6native12_GLOBAL__N_137upsample_bicubic2d_backward_out_frameIN3c104HalfEfEEviT0_S5_bN5torch10headeronly6detail27GenericPackedTensorAccessorINS8_14TensorAccessorINS3_8ArrayRefIlEET_Lm3ENS7_16DefaultPtrTraitsElEENS_6detail16IndexBoundsCheckILm4ElEESD_Lm4ESE_lEENS9_INSA_ISC_KSD_Lm3ESE_lEESI_SK_Lm4ESE_lEE
		.amdhsa_group_segment_fixed_size 0
		.amdhsa_private_segment_fixed_size 0
		.amdhsa_kernarg_size 416
		.amdhsa_user_sgpr_count 15
		.amdhsa_user_sgpr_dispatch_ptr 0
		.amdhsa_user_sgpr_queue_ptr 0
		.amdhsa_user_sgpr_kernarg_segment_ptr 1
		.amdhsa_user_sgpr_dispatch_id 0
		.amdhsa_user_sgpr_private_segment_size 0
		.amdhsa_wavefront_size32 1
		.amdhsa_uses_dynamic_stack 0
		.amdhsa_enable_private_segment 0
		.amdhsa_system_sgpr_workgroup_id_x 1
		.amdhsa_system_sgpr_workgroup_id_y 0
		.amdhsa_system_sgpr_workgroup_id_z 0
		.amdhsa_system_sgpr_workgroup_info 0
		.amdhsa_system_vgpr_workitem_id 0
		.amdhsa_next_free_vgpr 34
		.amdhsa_next_free_sgpr 28
		.amdhsa_reserve_vcc 1
		.amdhsa_float_round_mode_32 0
		.amdhsa_float_round_mode_16_64 0
		.amdhsa_float_denorm_mode_32 3
		.amdhsa_float_denorm_mode_16_64 3
		.amdhsa_dx10_clamp 1
		.amdhsa_ieee_mode 1
		.amdhsa_fp16_overflow 0
		.amdhsa_workgroup_processor_mode 1
		.amdhsa_memory_ordered 1
		.amdhsa_forward_progress 0
		.amdhsa_shared_vgpr_count 0
		.amdhsa_exception_fp_ieee_invalid_op 0
		.amdhsa_exception_fp_denorm_src 0
		.amdhsa_exception_fp_ieee_div_zero 0
		.amdhsa_exception_fp_ieee_overflow 0
		.amdhsa_exception_fp_ieee_underflow 0
		.amdhsa_exception_fp_ieee_inexact 0
		.amdhsa_exception_int_div_zero 0
	.end_amdhsa_kernel
	.section	.text._ZN2at6native12_GLOBAL__N_137upsample_bicubic2d_backward_out_frameIN3c104HalfEfEEviT0_S5_bN5torch10headeronly6detail27GenericPackedTensorAccessorINS8_14TensorAccessorINS3_8ArrayRefIlEET_Lm3ENS7_16DefaultPtrTraitsElEENS_6detail16IndexBoundsCheckILm4ElEESD_Lm4ESE_lEENS9_INSA_ISC_KSD_Lm3ESE_lEESI_SK_Lm4ESE_lEE,"axG",@progbits,_ZN2at6native12_GLOBAL__N_137upsample_bicubic2d_backward_out_frameIN3c104HalfEfEEviT0_S5_bN5torch10headeronly6detail27GenericPackedTensorAccessorINS8_14TensorAccessorINS3_8ArrayRefIlEET_Lm3ENS7_16DefaultPtrTraitsElEENS_6detail16IndexBoundsCheckILm4ElEESD_Lm4ESE_lEENS9_INSA_ISC_KSD_Lm3ESE_lEESI_SK_Lm4ESE_lEE,comdat
.Lfunc_end10:
	.size	_ZN2at6native12_GLOBAL__N_137upsample_bicubic2d_backward_out_frameIN3c104HalfEfEEviT0_S5_bN5torch10headeronly6detail27GenericPackedTensorAccessorINS8_14TensorAccessorINS3_8ArrayRefIlEET_Lm3ENS7_16DefaultPtrTraitsElEENS_6detail16IndexBoundsCheckILm4ElEESD_Lm4ESE_lEENS9_INSA_ISC_KSD_Lm3ESE_lEESI_SK_Lm4ESE_lEE, .Lfunc_end10-_ZN2at6native12_GLOBAL__N_137upsample_bicubic2d_backward_out_frameIN3c104HalfEfEEviT0_S5_bN5torch10headeronly6detail27GenericPackedTensorAccessorINS8_14TensorAccessorINS3_8ArrayRefIlEET_Lm3ENS7_16DefaultPtrTraitsElEENS_6detail16IndexBoundsCheckILm4ElEESD_Lm4ESE_lEENS9_INSA_ISC_KSD_Lm3ESE_lEESI_SK_Lm4ESE_lEE
                                        ; -- End function
	.section	.AMDGPU.csdata,"",@progbits
; Kernel info:
; codeLenInByte = 2628
; NumSgprs: 30
; NumVgprs: 34
; ScratchSize: 0
; MemoryBound: 0
; FloatMode: 240
; IeeeMode: 1
; LDSByteSize: 0 bytes/workgroup (compile time only)
; SGPRBlocks: 3
; VGPRBlocks: 4
; NumSGPRsForWavesPerEU: 30
; NumVGPRsForWavesPerEU: 34
; Occupancy: 16
; WaveLimiterHint : 1
; COMPUTE_PGM_RSRC2:SCRATCH_EN: 0
; COMPUTE_PGM_RSRC2:USER_SGPR: 15
; COMPUTE_PGM_RSRC2:TRAP_HANDLER: 0
; COMPUTE_PGM_RSRC2:TGID_X_EN: 1
; COMPUTE_PGM_RSRC2:TGID_Y_EN: 0
; COMPUTE_PGM_RSRC2:TGID_Z_EN: 0
; COMPUTE_PGM_RSRC2:TIDIG_COMP_CNT: 0
	.section	.text._ZN2at6native12_GLOBAL__N_137upsample_bicubic2d_backward_out_frameIN3c108BFloat16EfEEviT0_S5_bN5torch10headeronly6detail27GenericPackedTensorAccessorINS8_14TensorAccessorINS3_8ArrayRefIlEET_Lm3ENS7_16DefaultPtrTraitsElEENS_6detail16IndexBoundsCheckILm4ElEESD_Lm4ESE_lEENS9_INSA_ISC_KSD_Lm3ESE_lEESI_SK_Lm4ESE_lEE,"axG",@progbits,_ZN2at6native12_GLOBAL__N_137upsample_bicubic2d_backward_out_frameIN3c108BFloat16EfEEviT0_S5_bN5torch10headeronly6detail27GenericPackedTensorAccessorINS8_14TensorAccessorINS3_8ArrayRefIlEET_Lm3ENS7_16DefaultPtrTraitsElEENS_6detail16IndexBoundsCheckILm4ElEESD_Lm4ESE_lEENS9_INSA_ISC_KSD_Lm3ESE_lEESI_SK_Lm4ESE_lEE,comdat
	.globl	_ZN2at6native12_GLOBAL__N_137upsample_bicubic2d_backward_out_frameIN3c108BFloat16EfEEviT0_S5_bN5torch10headeronly6detail27GenericPackedTensorAccessorINS8_14TensorAccessorINS3_8ArrayRefIlEET_Lm3ENS7_16DefaultPtrTraitsElEENS_6detail16IndexBoundsCheckILm4ElEESD_Lm4ESE_lEENS9_INSA_ISC_KSD_Lm3ESE_lEESI_SK_Lm4ESE_lEE ; -- Begin function _ZN2at6native12_GLOBAL__N_137upsample_bicubic2d_backward_out_frameIN3c108BFloat16EfEEviT0_S5_bN5torch10headeronly6detail27GenericPackedTensorAccessorINS8_14TensorAccessorINS3_8ArrayRefIlEET_Lm3ENS7_16DefaultPtrTraitsElEENS_6detail16IndexBoundsCheckILm4ElEESD_Lm4ESE_lEENS9_INSA_ISC_KSD_Lm3ESE_lEESI_SK_Lm4ESE_lEE
	.p2align	8
	.type	_ZN2at6native12_GLOBAL__N_137upsample_bicubic2d_backward_out_frameIN3c108BFloat16EfEEviT0_S5_bN5torch10headeronly6detail27GenericPackedTensorAccessorINS8_14TensorAccessorINS3_8ArrayRefIlEET_Lm3ENS7_16DefaultPtrTraitsElEENS_6detail16IndexBoundsCheckILm4ElEESD_Lm4ESE_lEENS9_INSA_ISC_KSD_Lm3ESE_lEESI_SK_Lm4ESE_lEE,@function
_ZN2at6native12_GLOBAL__N_137upsample_bicubic2d_backward_out_frameIN3c108BFloat16EfEEviT0_S5_bN5torch10headeronly6detail27GenericPackedTensorAccessorINS8_14TensorAccessorINS3_8ArrayRefIlEET_Lm3ENS7_16DefaultPtrTraitsElEENS_6detail16IndexBoundsCheckILm4ElEESD_Lm4ESE_lEENS9_INSA_ISC_KSD_Lm3ESE_lEESI_SK_Lm4ESE_lEE: ; @_ZN2at6native12_GLOBAL__N_137upsample_bicubic2d_backward_out_frameIN3c108BFloat16EfEEviT0_S5_bN5torch10headeronly6detail27GenericPackedTensorAccessorINS8_14TensorAccessorINS3_8ArrayRefIlEET_Lm3ENS7_16DefaultPtrTraitsElEENS_6detail16IndexBoundsCheckILm4ElEESD_Lm4ESE_lEENS9_INSA_ISC_KSD_Lm3ESE_lEESI_SK_Lm4ESE_lEE
; %bb.0:
	s_clause 0x1
	s_load_b32 s2, s[0:1], 0xac
	s_load_b128 s[16:19], s[0:1], 0x0
	s_waitcnt lgkmcnt(0)
	s_and_b32 s2, s2, 0xffff
	s_delay_alu instid0(SALU_CYCLE_1) | instskip(SKIP_1) | instid1(VALU_DEP_1)
	v_mad_u64_u32 v[1:2], null, s15, s2, v[0:1]
	s_mov_b32 s2, exec_lo
	v_cmpx_gt_i32_e64 s16, v1
	s_cbranch_execz .LBB11_41
; %bb.1:
	s_load_b128 s[12:15], s[0:1], 0x70
	v_sub_nc_u32_e32 v3, 0, v1
	s_load_b256 s[4:11], s[0:1], 0x18
	s_delay_alu instid0(VALU_DEP_1) | instskip(SKIP_2) | instid1(SALU_CYCLE_1)
	v_max_i32_e32 v3, v1, v3
	s_waitcnt lgkmcnt(0)
	s_abs_i32 s2, s14
	v_cvt_f32_u32_e32 v0, s2
	s_sub_i32 s3, 0, s2
	s_cmp_lg_u32 s8, s12
	s_delay_alu instid0(VALU_DEP_1) | instskip(SKIP_2) | instid1(VALU_DEP_1)
	v_rcp_iflag_f32_e32 v0, v0
	s_waitcnt_depctr 0xfff
	v_mul_f32_e32 v0, 0x4f7ffffe, v0
	v_cvt_u32_f32_e32 v0, v0
	s_delay_alu instid0(VALU_DEP_1) | instskip(NEXT) | instid1(VALU_DEP_1)
	v_mul_lo_u32 v2, s3, v0
	v_mul_hi_u32 v2, v0, v2
	s_delay_alu instid0(VALU_DEP_1) | instskip(NEXT) | instid1(VALU_DEP_1)
	v_add_nc_u32_e32 v0, v0, v2
	v_mul_hi_u32 v0, v3, v0
	s_delay_alu instid0(VALU_DEP_1) | instskip(NEXT) | instid1(VALU_DEP_1)
	v_mul_lo_u32 v2, v0, s2
	v_sub_nc_u32_e32 v2, v3, v2
	v_add_nc_u32_e32 v3, 1, v0
	s_delay_alu instid0(VALU_DEP_2) | instskip(SKIP_1) | instid1(VALU_DEP_3)
	v_subrev_nc_u32_e32 v4, s2, v2
	v_cmp_le_u32_e32 vcc_lo, s2, v2
	v_cndmask_b32_e32 v0, v0, v3, vcc_lo
	s_delay_alu instid0(VALU_DEP_3) | instskip(SKIP_1) | instid1(VALU_DEP_3)
	v_cndmask_b32_e32 v2, v2, v4, vcc_lo
	v_xor_b32_e32 v3, s14, v1
	v_add_nc_u32_e32 v4, 1, v0
	s_delay_alu instid0(VALU_DEP_3) | instskip(NEXT) | instid1(VALU_DEP_3)
	v_cmp_le_u32_e32 vcc_lo, s2, v2
	v_ashrrev_i32_e32 v3, 31, v3
	s_cselect_b32 s2, -1, 0
	s_cmp_lg_u32 s10, s14
	v_cndmask_b32_e32 v0, v0, v4, vcc_lo
	s_cselect_b32 s3, -1, 0
	s_delay_alu instid0(SALU_CYCLE_1) | instskip(NEXT) | instid1(VALU_DEP_1)
	s_or_b32 s2, s3, s2
	v_xor_b32_e32 v0, v0, v3
	s_and_b32 vcc_lo, exec_lo, s2
	s_mov_b32 s2, -1
	s_delay_alu instid0(VALU_DEP_1) | instskip(NEXT) | instid1(VALU_DEP_1)
	v_sub_nc_u32_e32 v14, v0, v3
	v_mul_lo_u32 v0, v14, s14
	s_delay_alu instid0(VALU_DEP_1)
	v_sub_nc_u32_e32 v15, v1, v0
	s_cbranch_vccz .LBB11_35
; %bb.2:
	s_cmp_lt_i32 s4, 1
	s_cbranch_scc1 .LBB11_34
; %bb.3:
	s_delay_alu instid0(VALU_DEP_1) | instskip(SKIP_4) | instid1(VALU_DEP_1)
	v_cvt_f32_i32_e32 v0, v15
	v_cvt_f32_i32_e32 v1, v14
	s_bitcmp1_b32 s19, 0
	s_mov_b32 s9, 0x3fa00000
	s_cselect_b32 vcc_lo, -1, 0
	v_dual_add_f32 v2, 0.5, v0 :: v_dual_add_f32 v3, 0.5, v1
	v_dual_mul_f32 v0, s18, v0 :: v_dual_mul_f32 v1, s17, v1
	s_mov_b32 s7, 0xbf400000
	s_delay_alu instid0(VALU_DEP_2) | instskip(NEXT) | instid1(VALU_DEP_3)
	v_fma_f32 v2, v2, s18, -0.5
	v_fma_f32 v3, v3, s17, -0.5
	s_clause 0x2
	s_load_b256 s[12:19], s[0:1], 0x80
	s_load_b256 s[20:27], s[0:1], 0x38
	s_load_b64 s[2:3], s[0:1], 0x58
	v_dual_cndmask_b32 v0, v2, v0 :: v_dual_cndmask_b32 v1, v3, v1
	s_cmp_gt_i32 s6, 0
	s_cselect_b32 s5, -1, 0
	s_delay_alu instid0(VALU_DEP_1) | instskip(NEXT) | instid1(VALU_DEP_2)
	v_floor_f32_e32 v2, v0
	v_floor_f32_e32 v3, v1
	s_add_i32 s8, s8, -1
	s_delay_alu instid0(VALU_DEP_2) | instskip(NEXT) | instid1(VALU_DEP_2)
	v_cvt_i32_f32_e32 v6, v2
	v_cvt_i32_f32_e32 v26, v3
	v_ashrrev_i32_e32 v2, 31, v14
	s_delay_alu instid0(VALU_DEP_3) | instskip(NEXT) | instid1(VALU_DEP_3)
	v_cvt_f32_i32_e32 v3, v6
	v_cvt_f32_i32_e32 v4, v26
	s_waitcnt lgkmcnt(0)
	v_mul_lo_u32 v5, s17, v14
	v_mul_lo_u32 v2, s16, v2
	v_dual_sub_f32 v3, v0, v3 :: v_dual_add_nc_u32 v26, -1, v26
	v_sub_f32_e32 v4, v1, v4
	v_mad_u64_u32 v[0:1], null, s16, v14, 0
	s_delay_alu instid0(VALU_DEP_2) | instskip(SKIP_2) | instid1(VALU_DEP_2)
	v_dual_add_f32 v7, 1.0, v3 :: v_dual_add_f32 v10, 1.0, v4
	v_dual_fmaak_f32 v8, s9, v3, 0xc0100000 :: v_dual_fmaak_f32 v11, s9, v4, 0xc0100000
	v_dual_sub_f32 v9, 1.0, v3 :: v_dual_sub_f32 v12, 1.0, v4
	v_dual_fmaak_f32 v13, s7, v7, 0x40700000 :: v_dual_mul_f32 v8, v3, v8
	s_delay_alu instid0(VALU_DEP_4) | instskip(NEXT) | instid1(VALU_DEP_3)
	v_fmaak_f32 v18, s7, v10, 0x40700000
	v_dual_add_f32 v22, 1.0, v9 :: v_dual_mul_f32 v11, v4, v11
	s_delay_alu instid0(VALU_DEP_4) | instskip(SKIP_4) | instid1(VALU_DEP_4)
	v_fmaak_f32 v19, s9, v12, 0xc0100000
	v_fmaak_f32 v17, s9, v9, 0xc0100000
	v_add_f32_e32 v23, 1.0, v12
	v_dual_fmaak_f32 v13, v7, v13, 0xc0c00000 :: v_dual_fmaak_f32 v20, v10, v18, 0xc0c00000
	v_fma_f32 v16, v3, v8, 1.0
	v_dual_mul_f32 v3, v9, v17 :: v_dual_fmaak_f32 v8, s7, v22, 0x40700000
	v_fma_f32 v17, v4, v11, 1.0
	v_fmaak_f32 v11, s7, v23, 0x40700000
	v_fmaak_f32 v18, v7, v13, 0x40400000
	;; [unrolled: 1-line block ×3, first 2 shown]
	v_dual_fmaak_f32 v7, v22, v8, 0xc0c00000 :: v_dual_add_nc_u32 v10, 2, v6
	s_delay_alu instid0(VALU_DEP_4) | instskip(SKIP_3) | instid1(VALU_DEP_3)
	v_fmaak_f32 v8, v23, v11, 0xc0c00000
	s_add_i32 s7, s10, -1
	v_add3_u32 v1, v1, v2, v5
	v_minmax_i32 v25, v6, s7, 0
	v_dual_fmaak_f32 v22, v22, v7, 0x40400000 :: v_dual_fmaak_f32 v23, v23, v8, 0x40400000
	v_add_nc_u32_e32 v8, 1, v6
	v_mul_f32_e32 v4, v12, v19
	v_fma_f32 v19, v9, v3, 1.0
	v_add_nc_u32_e32 v3, -1, v6
	v_mul_lo_u32 v7, s19, v15
	v_minmax_i32 v30, v8, s7, 0
	v_fma_f32 v21, v12, v4, 1.0
	v_ashrrev_i32_e32 v4, 31, v15
	v_minmax_i32 v24, v3, s7, 0
	v_mad_u64_u32 v[2:3], null, s18, v15, 0
	v_minmax_i32 v31, v10, s7, 0
	s_delay_alu instid0(VALU_DEP_4) | instskip(NEXT) | instid1(VALU_DEP_4)
	v_mul_lo_u32 v9, s18, v4
	v_mad_u64_u32 v[4:5], null, s26, v24, 0
	v_lshlrev_b64 v[0:1], 1, v[0:1]
	s_delay_alu instid0(VALU_DEP_4) | instskip(SKIP_2) | instid1(VALU_DEP_4)
	v_mad_u64_u32 v[10:11], null, s26, v31, 0
	s_load_b64 s[10:11], s[0:1], 0x10
	s_mov_b32 s7, 0
	v_add3_u32 v3, v3, v9, v7
	v_mad_u64_u32 v[6:7], null, s26, v25, 0
	v_mad_u64_u32 v[8:9], null, s26, v30, 0
	v_add_co_u32 v32, vcc_lo, s2, v0
	v_add_co_ci_u32_e32 v33, vcc_lo, s3, v1, vcc_lo
	v_lshlrev_b64 v[0:1], 1, v[2:3]
	v_mad_u64_u32 v[12:13], null, s27, v24, v[5:6]
	v_dual_mov_b32 v2, v7 :: v_dual_mov_b32 v3, v9
	v_mov_b32_e32 v5, v11
	s_delay_alu instid0(VALU_DEP_4) | instskip(NEXT) | instid1(VALU_DEP_3)
	v_add_co_u32 v24, vcc_lo, v32, v0
	v_mad_u64_u32 v[27:28], null, s27, v25, v[2:3]
	v_mad_u64_u32 v[28:29], null, s27, v30, v[3:4]
	s_delay_alu instid0(VALU_DEP_4) | instskip(SKIP_4) | instid1(VALU_DEP_4)
	v_mad_u64_u32 v[2:3], null, s27, v31, v[5:6]
	v_mov_b32_e32 v5, v12
	v_add_co_ci_u32_e32 v25, vcc_lo, v33, v1, vcc_lo
	v_mov_b32_e32 v7, v27
	v_mov_b32_e32 v9, v28
	v_lshlrev_b64 v[0:1], 1, v[4:5]
	v_mov_b32_e32 v11, v2
	s_delay_alu instid0(VALU_DEP_4) | instskip(NEXT) | instid1(VALU_DEP_4)
	v_lshlrev_b64 v[2:3], 1, v[6:7]
	v_lshlrev_b64 v[4:5], 1, v[8:9]
	v_mov_b32_e32 v9, 0
	s_delay_alu instid0(VALU_DEP_4)
	v_lshlrev_b64 v[6:7], 1, v[10:11]
	s_branch .LBB11_5
.LBB11_4:                               ;   in Loop: Header=BB11_5 Depth=1
	s_add_i32 s7, s7, 1
	s_delay_alu instid0(SALU_CYCLE_1)
	s_cmp_eq_u32 s7, s4
	s_cbranch_scc1 .LBB11_34
.LBB11_5:                               ; =>This Loop Header: Depth=1
                                        ;     Child Loop BB11_8 Depth 2
                                        ;       Child Loop BB11_10 Depth 3
                                        ;         Child Loop BB11_12 Depth 4
                                        ;         Child Loop BB11_18 Depth 4
	;; [unrolled: 1-line block ×4, first 2 shown]
	s_and_not1_b32 vcc_lo, exec_lo, s5
	s_cbranch_vccnz .LBB11_4
; %bb.6:                                ;   in Loop: Header=BB11_5 Depth=1
	s_mul_i32 s2, s13, s7
	s_mul_hi_u32 s3, s12, s7
	s_mul_i32 s9, s21, s7
	s_add_i32 s3, s3, s2
	s_mul_i32 s2, s12, s7
	s_mul_hi_u32 s16, s20, s7
	s_lshl_b64 s[2:3], s[2:3], 1
	s_add_i32 s17, s16, s9
	s_mul_i32 s16, s20, s7
	v_add_co_u32 v27, vcc_lo, v24, s2
	s_lshl_b64 s[16:17], s[16:17], 1
	v_add_co_ci_u32_e32 v28, vcc_lo, s3, v25, vcc_lo
	s_waitcnt lgkmcnt(0)
	s_add_u32 s9, s10, s16
	s_addc_u32 s16, s11, s17
	s_mov_b32 s17, 0
	s_branch .LBB11_8
.LBB11_7:                               ;   in Loop: Header=BB11_8 Depth=2
	s_add_i32 s17, s17, 1
	s_delay_alu instid0(SALU_CYCLE_1)
	s_cmp_eq_u32 s17, s6
	s_cbranch_scc1 .LBB11_4
.LBB11_8:                               ;   Parent Loop BB11_5 Depth=1
                                        ; =>  This Loop Header: Depth=2
                                        ;       Child Loop BB11_10 Depth 3
                                        ;         Child Loop BB11_12 Depth 4
                                        ;         Child Loop BB11_18 Depth 4
	;; [unrolled: 1-line block ×4, first 2 shown]
	s_mul_i32 s3, s15, s17
	s_mul_hi_u32 s18, s14, s17
	s_mul_i32 s2, s14, s17
	s_add_i32 s3, s18, s3
	s_mov_b32 s26, 0
	s_lshl_b64 s[2:3], s[2:3], 1
	s_delay_alu instid0(SALU_CYCLE_1)
	v_add_co_u32 v10, vcc_lo, v27, s2
	v_add_co_ci_u32_e32 v11, vcc_lo, s3, v28, vcc_lo
	s_mul_i32 s2, s23, s17
	s_mul_hi_u32 s3, s22, s17
	global_load_u16 v8, v[10:11], off
	s_add_i32 s3, s3, s2
	s_mul_i32 s2, s22, s17
	s_delay_alu instid0(SALU_CYCLE_1) | instskip(NEXT) | instid1(SALU_CYCLE_1)
	s_lshl_b64 s[2:3], s[2:3], 1
	s_add_u32 s18, s9, s2
	s_addc_u32 s19, s16, s3
	s_waitcnt vmcnt(0)
	v_lshlrev_b32_e32 v29, 16, v8
	s_branch .LBB11_10
.LBB11_9:                               ;   in Loop: Header=BB11_10 Depth=3
	s_set_inst_prefetch_distance 0x2
	s_or_b32 exec_lo, exec_lo, s27
	s_add_i32 s26, s26, 1
	s_delay_alu instid0(SALU_CYCLE_1)
	s_cmp_eq_u32 s26, 4
	s_cbranch_scc1 .LBB11_7
.LBB11_10:                              ;   Parent Loop BB11_5 Depth=1
                                        ;     Parent Loop BB11_8 Depth=2
                                        ; =>    This Loop Header: Depth=3
                                        ;         Child Loop BB11_12 Depth 4
                                        ;         Child Loop BB11_18 Depth 4
	;; [unrolled: 1-line block ×4, first 2 shown]
	v_add_nc_u32_e32 v8, s26, v26
	s_cmp_eq_u32 s26, 1
	s_mov_b32 s27, 0
	s_delay_alu instid0(VALU_DEP_1) | instskip(NEXT) | instid1(VALU_DEP_1)
	v_minmax_i32 v13, v8, s8, 0
	v_mad_u64_u32 v[10:11], null, s24, v13, 0
	s_delay_alu instid0(VALU_DEP_1) | instskip(NEXT) | instid1(VALU_DEP_1)
	v_mov_b32_e32 v8, v11
	v_mad_u64_u32 v[11:12], null, s25, v13, v[8:9]
	s_delay_alu instid0(VALU_DEP_1) | instskip(NEXT) | instid1(VALU_DEP_1)
	v_lshlrev_b64 v[10:11], 1, v[10:11]
	v_add_co_u32 v30, vcc_lo, s18, v10
	s_delay_alu instid0(VALU_DEP_2) | instskip(NEXT) | instid1(VALU_DEP_2)
	v_add_co_ci_u32_e32 v31, vcc_lo, s19, v11, vcc_lo
	v_add_co_u32 v8, vcc_lo, v30, v0
	s_delay_alu instid0(VALU_DEP_2) | instskip(SKIP_1) | instid1(VALU_DEP_2)
	v_add_co_ci_u32_e32 v11, vcc_lo, v31, v1, vcc_lo
	s_cselect_b32 vcc_lo, -1, 0
	v_and_b32_e32 v10, -3, v8
	v_cndmask_b32_e32 v12, v20, v17, vcc_lo
	s_cmp_eq_u32 s26, 2
	v_and_b32_e32 v8, 2, v8
	s_cselect_b32 vcc_lo, -1, 0
	global_load_b32 v13, v[10:11], off
	v_cndmask_b32_e32 v12, v12, v21, vcc_lo
	s_cmp_eq_u32 s26, 3
	v_cmp_ne_u32_e64 s2, 0, v8
	s_cselect_b32 vcc_lo, -1, 0
	s_delay_alu instid0(VALU_DEP_2) | instskip(SKIP_1) | instid1(VALU_DEP_2)
	v_cndmask_b32_e32 v12, v12, v23, vcc_lo
	v_cmp_eq_u64_e32 vcc_lo, 0, v[8:9]
	v_mul_f32_e32 v32, v12, v29
	s_delay_alu instid0(VALU_DEP_1) | instskip(NEXT) | instid1(VALU_DEP_1)
	v_mul_f32_e32 v12, v32, v18
	v_bfe_u32 v33, v12, 16, 1
	v_cmp_o_f32_e64 s3, v12, v12
	s_delay_alu instid0(VALU_DEP_2) | instskip(NEXT) | instid1(VALU_DEP_1)
	v_add3_u32 v33, v12, v33, 0x7fff
	v_and_b32_e32 v33, 0xffff0000, v33
	s_delay_alu instid0(VALU_DEP_1)
	v_cndmask_b32_e64 v8, 0x7fc00000, v33, s3
	s_set_inst_prefetch_distance 0x1
	s_branch .LBB11_12
	.p2align	6
.LBB11_11:                              ;   in Loop: Header=BB11_12 Depth=4
	s_or_b32 exec_lo, exec_lo, s3
	global_atomic_cmpswap_b32 v12, v[10:11], v[12:13], off glc
	s_waitcnt vmcnt(0)
	v_cmp_eq_u32_e64 s3, v13, v12
	v_mov_b32_e32 v13, v12
	s_delay_alu instid0(VALU_DEP_2) | instskip(NEXT) | instid1(SALU_CYCLE_1)
	s_or_b32 s27, s3, s27
	s_and_not1_b32 exec_lo, exec_lo, s27
	s_cbranch_execz .LBB11_16
.LBB11_12:                              ;   Parent Loop BB11_5 Depth=1
                                        ;     Parent Loop BB11_8 Depth=2
                                        ;       Parent Loop BB11_10 Depth=3
                                        ; =>      This Inner Loop Header: Depth=4
	s_waitcnt vmcnt(0)
	v_lshrrev_b32_e32 v12, 16, v13
	s_delay_alu instid0(VALU_DEP_1) | instskip(NEXT) | instid1(VALU_DEP_1)
	v_cndmask_b32_e32 v12, v12, v13, vcc_lo
	v_lshlrev_b32_e32 v12, 16, v12
	s_delay_alu instid0(VALU_DEP_1) | instskip(NEXT) | instid1(VALU_DEP_1)
	v_add_f32_e32 v12, v8, v12
	v_bfe_u32 v33, v12, 16, 1
	v_cmp_o_f32_e64 s3, v12, v12
	s_delay_alu instid0(VALU_DEP_2) | instskip(NEXT) | instid1(VALU_DEP_1)
	v_add3_u32 v33, v12, v33, 0x7fff
	v_lshrrev_b32_e32 v33, 16, v33
	s_delay_alu instid0(VALU_DEP_1) | instskip(SKIP_1) | instid1(SALU_CYCLE_1)
	v_cndmask_b32_e64 v33, 0x7fc0, v33, s3
	s_and_saveexec_b32 s3, s2
	s_xor_b32 s3, exec_lo, s3
; %bb.13:                               ;   in Loop: Header=BB11_12 Depth=4
	v_and_b32_e32 v12, 0xffff, v13
	s_delay_alu instid0(VALU_DEP_1)
	v_lshl_or_b32 v12, v33, 16, v12
                                        ; implicit-def: $vgpr33
; %bb.14:                               ;   in Loop: Header=BB11_12 Depth=4
	s_and_not1_saveexec_b32 s3, s3
	s_cbranch_execz .LBB11_11
; %bb.15:                               ;   in Loop: Header=BB11_12 Depth=4
	v_and_or_b32 v12, 0xffff0000, v13, v33
	s_branch .LBB11_11
.LBB11_16:                              ;   in Loop: Header=BB11_10 Depth=3
	s_set_inst_prefetch_distance 0x2
	s_or_b32 exec_lo, exec_lo, s27
	v_add_co_u32 v8, vcc_lo, v30, v2
	v_add_co_ci_u32_e32 v11, vcc_lo, v31, v3, vcc_lo
	v_mul_f32_e32 v12, v32, v16
	s_delay_alu instid0(VALU_DEP_3) | instskip(SKIP_2) | instid1(VALU_DEP_3)
	v_and_b32_e32 v10, -3, v8
	v_and_b32_e32 v8, 2, v8
	s_mov_b32 s27, 0
	v_bfe_u32 v33, v12, 16, 1
	global_load_b32 v13, v[10:11], off
	v_cmp_eq_u64_e32 vcc_lo, 0, v[8:9]
	v_cmp_ne_u32_e64 s2, 0, v8
	v_add3_u32 v33, v12, v33, 0x7fff
	s_delay_alu instid0(VALU_DEP_1) | instskip(SKIP_1) | instid1(VALU_DEP_1)
	v_and_b32_e32 v33, 0xffff0000, v33
	v_cmp_o_f32_e64 s3, v12, v12
	v_cndmask_b32_e64 v8, 0x7fc00000, v33, s3
	s_set_inst_prefetch_distance 0x1
	s_branch .LBB11_18
	.p2align	6
.LBB11_17:                              ;   in Loop: Header=BB11_18 Depth=4
	s_or_b32 exec_lo, exec_lo, s3
	global_atomic_cmpswap_b32 v12, v[10:11], v[12:13], off glc
	s_waitcnt vmcnt(0)
	v_cmp_eq_u32_e64 s3, v13, v12
	v_mov_b32_e32 v13, v12
	s_delay_alu instid0(VALU_DEP_2) | instskip(NEXT) | instid1(SALU_CYCLE_1)
	s_or_b32 s27, s3, s27
	s_and_not1_b32 exec_lo, exec_lo, s27
	s_cbranch_execz .LBB11_22
.LBB11_18:                              ;   Parent Loop BB11_5 Depth=1
                                        ;     Parent Loop BB11_8 Depth=2
                                        ;       Parent Loop BB11_10 Depth=3
                                        ; =>      This Inner Loop Header: Depth=4
	s_waitcnt vmcnt(0)
	v_lshrrev_b32_e32 v12, 16, v13
	s_delay_alu instid0(VALU_DEP_1) | instskip(NEXT) | instid1(VALU_DEP_1)
	v_cndmask_b32_e32 v12, v12, v13, vcc_lo
	v_lshlrev_b32_e32 v12, 16, v12
	s_delay_alu instid0(VALU_DEP_1) | instskip(NEXT) | instid1(VALU_DEP_1)
	v_add_f32_e32 v12, v8, v12
	v_bfe_u32 v33, v12, 16, 1
	v_cmp_o_f32_e64 s3, v12, v12
	s_delay_alu instid0(VALU_DEP_2) | instskip(NEXT) | instid1(VALU_DEP_1)
	v_add3_u32 v33, v12, v33, 0x7fff
	v_lshrrev_b32_e32 v33, 16, v33
	s_delay_alu instid0(VALU_DEP_1) | instskip(SKIP_1) | instid1(SALU_CYCLE_1)
	v_cndmask_b32_e64 v33, 0x7fc0, v33, s3
	s_and_saveexec_b32 s3, s2
	s_xor_b32 s3, exec_lo, s3
; %bb.19:                               ;   in Loop: Header=BB11_18 Depth=4
	v_and_b32_e32 v12, 0xffff, v13
	s_delay_alu instid0(VALU_DEP_1)
	v_lshl_or_b32 v12, v33, 16, v12
                                        ; implicit-def: $vgpr33
; %bb.20:                               ;   in Loop: Header=BB11_18 Depth=4
	s_and_not1_saveexec_b32 s3, s3
	s_cbranch_execz .LBB11_17
; %bb.21:                               ;   in Loop: Header=BB11_18 Depth=4
	v_and_or_b32 v12, 0xffff0000, v13, v33
	s_branch .LBB11_17
.LBB11_22:                              ;   in Loop: Header=BB11_10 Depth=3
	s_set_inst_prefetch_distance 0x2
	s_or_b32 exec_lo, exec_lo, s27
	v_add_co_u32 v8, vcc_lo, v30, v4
	v_add_co_ci_u32_e32 v11, vcc_lo, v31, v5, vcc_lo
	v_mul_f32_e32 v12, v32, v19
	s_delay_alu instid0(VALU_DEP_3) | instskip(SKIP_2) | instid1(VALU_DEP_3)
	v_and_b32_e32 v10, -3, v8
	v_and_b32_e32 v8, 2, v8
	s_mov_b32 s27, 0
	v_bfe_u32 v33, v12, 16, 1
	global_load_b32 v13, v[10:11], off
	v_cmp_eq_u64_e32 vcc_lo, 0, v[8:9]
	v_cmp_ne_u32_e64 s2, 0, v8
	v_add3_u32 v33, v12, v33, 0x7fff
	s_delay_alu instid0(VALU_DEP_1) | instskip(SKIP_1) | instid1(VALU_DEP_1)
	v_and_b32_e32 v33, 0xffff0000, v33
	v_cmp_o_f32_e64 s3, v12, v12
	v_cndmask_b32_e64 v8, 0x7fc00000, v33, s3
	s_set_inst_prefetch_distance 0x1
	s_branch .LBB11_24
	.p2align	6
.LBB11_23:                              ;   in Loop: Header=BB11_24 Depth=4
	s_or_b32 exec_lo, exec_lo, s3
	global_atomic_cmpswap_b32 v12, v[10:11], v[12:13], off glc
	s_waitcnt vmcnt(0)
	v_cmp_eq_u32_e64 s3, v13, v12
	v_mov_b32_e32 v13, v12
	s_delay_alu instid0(VALU_DEP_2) | instskip(NEXT) | instid1(SALU_CYCLE_1)
	s_or_b32 s27, s3, s27
	s_and_not1_b32 exec_lo, exec_lo, s27
	s_cbranch_execz .LBB11_28
.LBB11_24:                              ;   Parent Loop BB11_5 Depth=1
                                        ;     Parent Loop BB11_8 Depth=2
                                        ;       Parent Loop BB11_10 Depth=3
                                        ; =>      This Inner Loop Header: Depth=4
	s_waitcnt vmcnt(0)
	v_lshrrev_b32_e32 v12, 16, v13
	s_delay_alu instid0(VALU_DEP_1) | instskip(NEXT) | instid1(VALU_DEP_1)
	v_cndmask_b32_e32 v12, v12, v13, vcc_lo
	v_lshlrev_b32_e32 v12, 16, v12
	s_delay_alu instid0(VALU_DEP_1) | instskip(NEXT) | instid1(VALU_DEP_1)
	v_add_f32_e32 v12, v8, v12
	v_bfe_u32 v33, v12, 16, 1
	v_cmp_o_f32_e64 s3, v12, v12
	s_delay_alu instid0(VALU_DEP_2) | instskip(NEXT) | instid1(VALU_DEP_1)
	v_add3_u32 v33, v12, v33, 0x7fff
	v_lshrrev_b32_e32 v33, 16, v33
	s_delay_alu instid0(VALU_DEP_1) | instskip(SKIP_1) | instid1(SALU_CYCLE_1)
	v_cndmask_b32_e64 v33, 0x7fc0, v33, s3
	s_and_saveexec_b32 s3, s2
	s_xor_b32 s3, exec_lo, s3
; %bb.25:                               ;   in Loop: Header=BB11_24 Depth=4
	v_and_b32_e32 v12, 0xffff, v13
	s_delay_alu instid0(VALU_DEP_1)
	v_lshl_or_b32 v12, v33, 16, v12
                                        ; implicit-def: $vgpr33
; %bb.26:                               ;   in Loop: Header=BB11_24 Depth=4
	s_and_not1_saveexec_b32 s3, s3
	s_cbranch_execz .LBB11_23
; %bb.27:                               ;   in Loop: Header=BB11_24 Depth=4
	v_and_or_b32 v12, 0xffff0000, v13, v33
	s_branch .LBB11_23
.LBB11_28:                              ;   in Loop: Header=BB11_10 Depth=3
	s_set_inst_prefetch_distance 0x2
	s_or_b32 exec_lo, exec_lo, s27
	v_add_co_u32 v8, vcc_lo, v30, v6
	v_add_co_ci_u32_e32 v11, vcc_lo, v31, v7, vcc_lo
	v_mul_f32_e32 v12, v32, v22
	s_delay_alu instid0(VALU_DEP_3) | instskip(SKIP_2) | instid1(VALU_DEP_3)
	v_and_b32_e32 v10, -3, v8
	v_and_b32_e32 v8, 2, v8
	s_mov_b32 s27, 0
	v_bfe_u32 v30, v12, 16, 1
	global_load_b32 v13, v[10:11], off
	v_cmp_o_f32_e64 s3, v12, v12
	v_cmp_eq_u64_e32 vcc_lo, 0, v[8:9]
	v_cmp_ne_u32_e64 s2, 0, v8
	v_add3_u32 v30, v12, v30, 0x7fff
	s_delay_alu instid0(VALU_DEP_1) | instskip(NEXT) | instid1(VALU_DEP_1)
	v_and_b32_e32 v30, 0xffff0000, v30
	v_cndmask_b32_e64 v8, 0x7fc00000, v30, s3
	s_set_inst_prefetch_distance 0x1
	s_branch .LBB11_30
	.p2align	6
.LBB11_29:                              ;   in Loop: Header=BB11_30 Depth=4
	s_or_b32 exec_lo, exec_lo, s3
	global_atomic_cmpswap_b32 v12, v[10:11], v[12:13], off glc
	s_waitcnt vmcnt(0)
	v_cmp_eq_u32_e64 s3, v13, v12
	v_mov_b32_e32 v13, v12
	s_delay_alu instid0(VALU_DEP_2) | instskip(NEXT) | instid1(SALU_CYCLE_1)
	s_or_b32 s27, s3, s27
	s_and_not1_b32 exec_lo, exec_lo, s27
	s_cbranch_execz .LBB11_9
.LBB11_30:                              ;   Parent Loop BB11_5 Depth=1
                                        ;     Parent Loop BB11_8 Depth=2
                                        ;       Parent Loop BB11_10 Depth=3
                                        ; =>      This Inner Loop Header: Depth=4
	s_waitcnt vmcnt(0)
	v_lshrrev_b32_e32 v12, 16, v13
	s_delay_alu instid0(VALU_DEP_1) | instskip(NEXT) | instid1(VALU_DEP_1)
	v_cndmask_b32_e32 v12, v12, v13, vcc_lo
	v_lshlrev_b32_e32 v12, 16, v12
	s_delay_alu instid0(VALU_DEP_1) | instskip(NEXT) | instid1(VALU_DEP_1)
	v_add_f32_e32 v12, v8, v12
	v_bfe_u32 v30, v12, 16, 1
	v_cmp_o_f32_e64 s3, v12, v12
	s_delay_alu instid0(VALU_DEP_2) | instskip(NEXT) | instid1(VALU_DEP_1)
	v_add3_u32 v30, v12, v30, 0x7fff
	v_lshrrev_b32_e32 v30, 16, v30
	s_delay_alu instid0(VALU_DEP_1) | instskip(SKIP_1) | instid1(SALU_CYCLE_1)
	v_cndmask_b32_e64 v30, 0x7fc0, v30, s3
	s_and_saveexec_b32 s3, s2
	s_xor_b32 s3, exec_lo, s3
; %bb.31:                               ;   in Loop: Header=BB11_30 Depth=4
	v_and_b32_e32 v12, 0xffff, v13
	s_delay_alu instid0(VALU_DEP_1)
	v_lshl_or_b32 v12, v30, 16, v12
                                        ; implicit-def: $vgpr30
; %bb.32:                               ;   in Loop: Header=BB11_30 Depth=4
	s_and_not1_saveexec_b32 s3, s3
	s_cbranch_execz .LBB11_29
; %bb.33:                               ;   in Loop: Header=BB11_30 Depth=4
	v_and_or_b32 v12, 0xffff0000, v13, v30
	s_branch .LBB11_29
.LBB11_34:
	s_mov_b32 s2, 0
.LBB11_35:
	s_delay_alu instid0(SALU_CYCLE_1)
	s_and_not1_b32 vcc_lo, exec_lo, s2
	s_cbranch_vccnz .LBB11_41
; %bb.36:
	s_cmp_lt_i32 s4, 1
	s_cbranch_scc1 .LBB11_41
; %bb.37:
	s_waitcnt lgkmcnt(0)
	s_clause 0x1
	s_load_b256 s[8:15], s[0:1], 0x80
	s_load_b256 s[16:23], s[0:1], 0x38
	v_ashrrev_i32_e32 v4, 31, v14
	s_clause 0x1
	s_load_b64 s[2:3], s[0:1], 0x10
	s_load_b64 s[0:1], s[0:1], 0x58
	v_ashrrev_i32_e32 v6, 31, v15
	s_cmp_gt_i32 s6, 0
	s_mov_b32 s5, 0
	s_cselect_b32 s7, -1, 0
	s_waitcnt lgkmcnt(0)
	v_mul_lo_u32 v8, s13, v14
	v_mul_lo_u32 v9, s12, v4
	v_mad_u64_u32 v[0:1], null, s12, v14, 0
	v_mul_lo_u32 v12, s21, v14
	v_mul_lo_u32 v13, s20, v4
	v_mad_u64_u32 v[4:5], null, s20, v14, 0
	;; [unrolled: 3-line block ×3, first 2 shown]
	v_add3_u32 v1, v1, v9, v8
	v_mul_lo_u32 v14, s23, v15
	v_mul_lo_u32 v16, s22, v6
	v_mad_u64_u32 v[6:7], null, s22, v15, 0
	v_add3_u32 v5, v5, v13, v12
	v_lshlrev_b64 v[0:1], 1, v[0:1]
	v_add3_u32 v3, v3, v11, v10
	s_lshl_b64 s[8:9], s[8:9], 1
	s_lshl_b64 s[10:11], s[10:11], 1
	v_lshlrev_b64 v[4:5], 1, v[4:5]
	v_add3_u32 v7, v7, v16, v14
	v_lshlrev_b64 v[2:3], 1, v[2:3]
	v_add_co_u32 v0, vcc_lo, s0, v0
	v_add_co_ci_u32_e32 v1, vcc_lo, s1, v1, vcc_lo
	s_delay_alu instid0(VALU_DEP_4) | instskip(SKIP_4) | instid1(VALU_DEP_4)
	v_lshlrev_b64 v[6:7], 1, v[6:7]
	v_add_co_u32 v4, vcc_lo, s2, v4
	v_add_co_ci_u32_e32 v5, vcc_lo, s3, v5, vcc_lo
	v_add_co_u32 v0, vcc_lo, v0, v2
	v_add_co_ci_u32_e32 v1, vcc_lo, v1, v3, vcc_lo
	v_add_co_u32 v2, vcc_lo, v4, v6
	s_delay_alu instid0(VALU_DEP_4)
	v_add_co_ci_u32_e32 v3, vcc_lo, v5, v7, vcc_lo
	s_lshl_b64 s[0:1], s[16:17], 1
	s_lshl_b64 s[2:3], s[18:19], 1
	s_set_inst_prefetch_distance 0x1
	s_branch .LBB11_39
	.p2align	6
.LBB11_38:                              ;   in Loop: Header=BB11_39 Depth=1
	v_add_co_u32 v2, vcc_lo, v2, s0
	v_add_co_ci_u32_e32 v3, vcc_lo, s1, v3, vcc_lo
	v_add_co_u32 v0, vcc_lo, v0, s8
	v_add_co_ci_u32_e32 v1, vcc_lo, s9, v1, vcc_lo
	s_add_i32 s5, s5, 1
	s_delay_alu instid0(SALU_CYCLE_1)
	s_cmp_eq_u32 s5, s4
	s_cbranch_scc1 .LBB11_41
.LBB11_39:                              ; =>This Loop Header: Depth=1
                                        ;     Child Loop BB11_40 Depth 2
	s_delay_alu instid0(VALU_DEP_1)
	v_dual_mov_b32 v5, v1 :: v_dual_mov_b32 v4, v0
	v_dual_mov_b32 v7, v3 :: v_dual_mov_b32 v6, v2
	s_and_not1_b32 vcc_lo, exec_lo, s7
	s_mov_b32 s12, s6
	s_cbranch_vccnz .LBB11_38
.LBB11_40:                              ;   Parent Loop BB11_39 Depth=1
                                        ; =>  This Inner Loop Header: Depth=2
	global_load_u16 v8, v[4:5], off
	v_add_co_u32 v4, vcc_lo, v4, s10
	v_add_co_ci_u32_e32 v5, vcc_lo, s11, v5, vcc_lo
	s_add_i32 s12, s12, -1
	s_delay_alu instid0(SALU_CYCLE_1)
	s_cmp_eq_u32 s12, 0
	s_waitcnt vmcnt(0)
	global_store_b16 v[6:7], v8, off
	v_add_co_u32 v6, vcc_lo, v6, s2
	v_add_co_ci_u32_e32 v7, vcc_lo, s3, v7, vcc_lo
	s_cbranch_scc0 .LBB11_40
	s_branch .LBB11_38
.LBB11_41:
	s_set_inst_prefetch_distance 0x2
	s_nop 0
	s_sendmsg sendmsg(MSG_DEALLOC_VGPRS)
	s_endpgm
	.section	.rodata,"a",@progbits
	.p2align	6, 0x0
	.amdhsa_kernel _ZN2at6native12_GLOBAL__N_137upsample_bicubic2d_backward_out_frameIN3c108BFloat16EfEEviT0_S5_bN5torch10headeronly6detail27GenericPackedTensorAccessorINS8_14TensorAccessorINS3_8ArrayRefIlEET_Lm3ENS7_16DefaultPtrTraitsElEENS_6detail16IndexBoundsCheckILm4ElEESD_Lm4ESE_lEENS9_INSA_ISC_KSD_Lm3ESE_lEESI_SK_Lm4ESE_lEE
		.amdhsa_group_segment_fixed_size 0
		.amdhsa_private_segment_fixed_size 0
		.amdhsa_kernarg_size 416
		.amdhsa_user_sgpr_count 15
		.amdhsa_user_sgpr_dispatch_ptr 0
		.amdhsa_user_sgpr_queue_ptr 0
		.amdhsa_user_sgpr_kernarg_segment_ptr 1
		.amdhsa_user_sgpr_dispatch_id 0
		.amdhsa_user_sgpr_private_segment_size 0
		.amdhsa_wavefront_size32 1
		.amdhsa_uses_dynamic_stack 0
		.amdhsa_enable_private_segment 0
		.amdhsa_system_sgpr_workgroup_id_x 1
		.amdhsa_system_sgpr_workgroup_id_y 0
		.amdhsa_system_sgpr_workgroup_id_z 0
		.amdhsa_system_sgpr_workgroup_info 0
		.amdhsa_system_vgpr_workitem_id 0
		.amdhsa_next_free_vgpr 34
		.amdhsa_next_free_sgpr 28
		.amdhsa_reserve_vcc 1
		.amdhsa_float_round_mode_32 0
		.amdhsa_float_round_mode_16_64 0
		.amdhsa_float_denorm_mode_32 3
		.amdhsa_float_denorm_mode_16_64 3
		.amdhsa_dx10_clamp 1
		.amdhsa_ieee_mode 1
		.amdhsa_fp16_overflow 0
		.amdhsa_workgroup_processor_mode 1
		.amdhsa_memory_ordered 1
		.amdhsa_forward_progress 0
		.amdhsa_shared_vgpr_count 0
		.amdhsa_exception_fp_ieee_invalid_op 0
		.amdhsa_exception_fp_denorm_src 0
		.amdhsa_exception_fp_ieee_div_zero 0
		.amdhsa_exception_fp_ieee_overflow 0
		.amdhsa_exception_fp_ieee_underflow 0
		.amdhsa_exception_fp_ieee_inexact 0
		.amdhsa_exception_int_div_zero 0
	.end_amdhsa_kernel
	.section	.text._ZN2at6native12_GLOBAL__N_137upsample_bicubic2d_backward_out_frameIN3c108BFloat16EfEEviT0_S5_bN5torch10headeronly6detail27GenericPackedTensorAccessorINS8_14TensorAccessorINS3_8ArrayRefIlEET_Lm3ENS7_16DefaultPtrTraitsElEENS_6detail16IndexBoundsCheckILm4ElEESD_Lm4ESE_lEENS9_INSA_ISC_KSD_Lm3ESE_lEESI_SK_Lm4ESE_lEE,"axG",@progbits,_ZN2at6native12_GLOBAL__N_137upsample_bicubic2d_backward_out_frameIN3c108BFloat16EfEEviT0_S5_bN5torch10headeronly6detail27GenericPackedTensorAccessorINS8_14TensorAccessorINS3_8ArrayRefIlEET_Lm3ENS7_16DefaultPtrTraitsElEENS_6detail16IndexBoundsCheckILm4ElEESD_Lm4ESE_lEENS9_INSA_ISC_KSD_Lm3ESE_lEESI_SK_Lm4ESE_lEE,comdat
.Lfunc_end11:
	.size	_ZN2at6native12_GLOBAL__N_137upsample_bicubic2d_backward_out_frameIN3c108BFloat16EfEEviT0_S5_bN5torch10headeronly6detail27GenericPackedTensorAccessorINS8_14TensorAccessorINS3_8ArrayRefIlEET_Lm3ENS7_16DefaultPtrTraitsElEENS_6detail16IndexBoundsCheckILm4ElEESD_Lm4ESE_lEENS9_INSA_ISC_KSD_Lm3ESE_lEESI_SK_Lm4ESE_lEE, .Lfunc_end11-_ZN2at6native12_GLOBAL__N_137upsample_bicubic2d_backward_out_frameIN3c108BFloat16EfEEviT0_S5_bN5torch10headeronly6detail27GenericPackedTensorAccessorINS8_14TensorAccessorINS3_8ArrayRefIlEET_Lm3ENS7_16DefaultPtrTraitsElEENS_6detail16IndexBoundsCheckILm4ElEESD_Lm4ESE_lEENS9_INSA_ISC_KSD_Lm3ESE_lEESI_SK_Lm4ESE_lEE
                                        ; -- End function
	.section	.AMDGPU.csdata,"",@progbits
; Kernel info:
; codeLenInByte = 3016
; NumSgprs: 30
; NumVgprs: 34
; ScratchSize: 0
; MemoryBound: 0
; FloatMode: 240
; IeeeMode: 1
; LDSByteSize: 0 bytes/workgroup (compile time only)
; SGPRBlocks: 3
; VGPRBlocks: 4
; NumSGPRsForWavesPerEU: 30
; NumVGPRsForWavesPerEU: 34
; Occupancy: 16
; WaveLimiterHint : 1
; COMPUTE_PGM_RSRC2:SCRATCH_EN: 0
; COMPUTE_PGM_RSRC2:USER_SGPR: 15
; COMPUTE_PGM_RSRC2:TRAP_HANDLER: 0
; COMPUTE_PGM_RSRC2:TGID_X_EN: 1
; COMPUTE_PGM_RSRC2:TGID_Y_EN: 0
; COMPUTE_PGM_RSRC2:TGID_Z_EN: 0
; COMPUTE_PGM_RSRC2:TIDIG_COMP_CNT: 0
	.text
	.p2alignl 7, 3214868480
	.fill 96, 4, 3214868480
	.type	__hip_cuid_77524ce239dc49f0,@object ; @__hip_cuid_77524ce239dc49f0
	.section	.bss,"aw",@nobits
	.globl	__hip_cuid_77524ce239dc49f0
__hip_cuid_77524ce239dc49f0:
	.byte	0                               ; 0x0
	.size	__hip_cuid_77524ce239dc49f0, 1

	.ident	"AMD clang version 19.0.0git (https://github.com/RadeonOpenCompute/llvm-project roc-6.4.0 25133 c7fe45cf4b819c5991fe208aaa96edf142730f1d)"
	.section	".note.GNU-stack","",@progbits
	.addrsig
	.addrsig_sym __hip_cuid_77524ce239dc49f0
	.amdgpu_metadata
---
amdhsa.kernels:
  - .args:
      - .offset:         0
        .size:           4
        .value_kind:     by_value
      - .offset:         8
        .size:           8
        .value_kind:     by_value
      - .offset:         16
        .size:           8
        .value_kind:     by_value
      - .offset:         24
        .size:           1
        .value_kind:     by_value
      - .offset:         32
        .size:           72
        .value_kind:     by_value
      - .offset:         104
        .size:           72
        .value_kind:     by_value
      - .offset:         176
        .size:           4
        .value_kind:     hidden_block_count_x
      - .offset:         180
        .size:           4
        .value_kind:     hidden_block_count_y
      - .offset:         184
        .size:           4
        .value_kind:     hidden_block_count_z
      - .offset:         188
        .size:           2
        .value_kind:     hidden_group_size_x
      - .offset:         190
        .size:           2
        .value_kind:     hidden_group_size_y
      - .offset:         192
        .size:           2
        .value_kind:     hidden_group_size_z
      - .offset:         194
        .size:           2
        .value_kind:     hidden_remainder_x
      - .offset:         196
        .size:           2
        .value_kind:     hidden_remainder_y
      - .offset:         198
        .size:           2
        .value_kind:     hidden_remainder_z
      - .offset:         216
        .size:           8
        .value_kind:     hidden_global_offset_x
      - .offset:         224
        .size:           8
        .value_kind:     hidden_global_offset_y
      - .offset:         232
        .size:           8
        .value_kind:     hidden_global_offset_z
      - .offset:         240
        .size:           2
        .value_kind:     hidden_grid_dims
    .group_segment_fixed_size: 0
    .kernarg_segment_align: 8
    .kernarg_segment_size: 432
    .language:       OpenCL C
    .language_version:
      - 2
      - 0
    .max_flat_workgroup_size: 1024
    .name:           _ZN2at6native12_GLOBAL__N_137upsample_bicubic2d_out_frame_parallelIddEEviT0_S3_bN5torch10headeronly6detail27GenericPackedTensorAccessorINS6_14TensorAccessorIN3c108ArrayRefIlEEKT_Lm3ENS5_16DefaultPtrTraitsElEENS_6detail16IndexBoundsCheckILm4ElEESD_Lm4ESE_lEENS7_INS8_ISB_SC_Lm3ESE_lEESI_SC_Lm4ESE_lEE
    .private_segment_fixed_size: 0
    .sgpr_count:     40
    .sgpr_spill_count: 0
    .symbol:         _ZN2at6native12_GLOBAL__N_137upsample_bicubic2d_out_frame_parallelIddEEviT0_S3_bN5torch10headeronly6detail27GenericPackedTensorAccessorINS6_14TensorAccessorIN3c108ArrayRefIlEEKT_Lm3ENS5_16DefaultPtrTraitsElEENS_6detail16IndexBoundsCheckILm4ElEESD_Lm4ESE_lEENS7_INS8_ISB_SC_Lm3ESE_lEESI_SC_Lm4ESE_lEE.kd
    .uniform_work_group_size: 1
    .uses_dynamic_stack: false
    .vgpr_count:     70
    .vgpr_spill_count: 0
    .wavefront_size: 32
    .workgroup_processor_mode: 1
  - .args:
      - .offset:         0
        .size:           4
        .value_kind:     by_value
      - .offset:         8
        .size:           8
        .value_kind:     by_value
      - .offset:         16
        .size:           8
        .value_kind:     by_value
      - .offset:         24
        .size:           1
        .value_kind:     by_value
      - .offset:         32
        .size:           72
        .value_kind:     by_value
      - .offset:         104
        .size:           72
        .value_kind:     by_value
      - .offset:         176
        .size:           4
        .value_kind:     hidden_block_count_x
      - .offset:         180
        .size:           4
        .value_kind:     hidden_block_count_y
      - .offset:         184
        .size:           4
        .value_kind:     hidden_block_count_z
      - .offset:         188
        .size:           2
        .value_kind:     hidden_group_size_x
      - .offset:         190
        .size:           2
        .value_kind:     hidden_group_size_y
      - .offset:         192
        .size:           2
        .value_kind:     hidden_group_size_z
      - .offset:         194
        .size:           2
        .value_kind:     hidden_remainder_x
      - .offset:         196
        .size:           2
        .value_kind:     hidden_remainder_y
      - .offset:         198
        .size:           2
        .value_kind:     hidden_remainder_z
      - .offset:         216
        .size:           8
        .value_kind:     hidden_global_offset_x
      - .offset:         224
        .size:           8
        .value_kind:     hidden_global_offset_y
      - .offset:         232
        .size:           8
        .value_kind:     hidden_global_offset_z
      - .offset:         240
        .size:           2
        .value_kind:     hidden_grid_dims
    .group_segment_fixed_size: 0
    .kernarg_segment_align: 8
    .kernarg_segment_size: 432
    .language:       OpenCL C
    .language_version:
      - 2
      - 0
    .max_flat_workgroup_size: 1024
    .name:           _ZN2at6native12_GLOBAL__N_128upsample_bicubic2d_out_frameIddEEviT0_S3_bN5torch10headeronly6detail27GenericPackedTensorAccessorINS6_14TensorAccessorIN3c108ArrayRefIlEEKT_Lm3ENS5_16DefaultPtrTraitsElEENS_6detail16IndexBoundsCheckILm4ElEESD_Lm4ESE_lEENS7_INS8_ISB_SC_Lm3ESE_lEESI_SC_Lm4ESE_lEE
    .private_segment_fixed_size: 0
    .sgpr_count:     32
    .sgpr_spill_count: 0
    .symbol:         _ZN2at6native12_GLOBAL__N_128upsample_bicubic2d_out_frameIddEEviT0_S3_bN5torch10headeronly6detail27GenericPackedTensorAccessorINS6_14TensorAccessorIN3c108ArrayRefIlEEKT_Lm3ENS5_16DefaultPtrTraitsElEENS_6detail16IndexBoundsCheckILm4ElEESD_Lm4ESE_lEENS7_INS8_ISB_SC_Lm3ESE_lEESI_SC_Lm4ESE_lEE.kd
    .uniform_work_group_size: 1
    .uses_dynamic_stack: false
    .vgpr_count:     86
    .vgpr_spill_count: 0
    .wavefront_size: 32
    .workgroup_processor_mode: 1
  - .args:
      - .offset:         0
        .size:           4
        .value_kind:     by_value
      - .offset:         4
        .size:           4
        .value_kind:     by_value
      - .offset:         8
        .size:           4
        .value_kind:     by_value
      - .offset:         12
        .size:           1
        .value_kind:     by_value
      - .offset:         16
        .size:           72
        .value_kind:     by_value
      - .offset:         88
        .size:           72
        .value_kind:     by_value
      - .offset:         160
        .size:           4
        .value_kind:     hidden_block_count_x
      - .offset:         164
        .size:           4
        .value_kind:     hidden_block_count_y
      - .offset:         168
        .size:           4
        .value_kind:     hidden_block_count_z
      - .offset:         172
        .size:           2
        .value_kind:     hidden_group_size_x
      - .offset:         174
        .size:           2
        .value_kind:     hidden_group_size_y
      - .offset:         176
        .size:           2
        .value_kind:     hidden_group_size_z
      - .offset:         178
        .size:           2
        .value_kind:     hidden_remainder_x
      - .offset:         180
        .size:           2
        .value_kind:     hidden_remainder_y
      - .offset:         182
        .size:           2
        .value_kind:     hidden_remainder_z
      - .offset:         200
        .size:           8
        .value_kind:     hidden_global_offset_x
      - .offset:         208
        .size:           8
        .value_kind:     hidden_global_offset_y
      - .offset:         216
        .size:           8
        .value_kind:     hidden_global_offset_z
      - .offset:         224
        .size:           2
        .value_kind:     hidden_grid_dims
    .group_segment_fixed_size: 0
    .kernarg_segment_align: 8
    .kernarg_segment_size: 416
    .language:       OpenCL C
    .language_version:
      - 2
      - 0
    .max_flat_workgroup_size: 1024
    .name:           _ZN2at6native12_GLOBAL__N_137upsample_bicubic2d_out_frame_parallelIffEEviT0_S3_bN5torch10headeronly6detail27GenericPackedTensorAccessorINS6_14TensorAccessorIN3c108ArrayRefIlEEKT_Lm3ENS5_16DefaultPtrTraitsElEENS_6detail16IndexBoundsCheckILm4ElEESD_Lm4ESE_lEENS7_INS8_ISB_SC_Lm3ESE_lEESI_SC_Lm4ESE_lEE
    .private_segment_fixed_size: 0
    .sgpr_count:     48
    .sgpr_spill_count: 0
    .symbol:         _ZN2at6native12_GLOBAL__N_137upsample_bicubic2d_out_frame_parallelIffEEviT0_S3_bN5torch10headeronly6detail27GenericPackedTensorAccessorINS6_14TensorAccessorIN3c108ArrayRefIlEEKT_Lm3ENS5_16DefaultPtrTraitsElEENS_6detail16IndexBoundsCheckILm4ElEESD_Lm4ESE_lEENS7_INS8_ISB_SC_Lm3ESE_lEESI_SC_Lm4ESE_lEE.kd
    .uniform_work_group_size: 1
    .uses_dynamic_stack: false
    .vgpr_count:     62
    .vgpr_spill_count: 0
    .wavefront_size: 32
    .workgroup_processor_mode: 1
  - .args:
      - .offset:         0
        .size:           4
        .value_kind:     by_value
      - .offset:         4
        .size:           4
        .value_kind:     by_value
      - .offset:         8
        .size:           4
        .value_kind:     by_value
      - .offset:         12
        .size:           1
        .value_kind:     by_value
      - .offset:         16
        .size:           72
        .value_kind:     by_value
      - .offset:         88
        .size:           72
        .value_kind:     by_value
      - .offset:         160
        .size:           4
        .value_kind:     hidden_block_count_x
      - .offset:         164
        .size:           4
        .value_kind:     hidden_block_count_y
      - .offset:         168
        .size:           4
        .value_kind:     hidden_block_count_z
      - .offset:         172
        .size:           2
        .value_kind:     hidden_group_size_x
      - .offset:         174
        .size:           2
        .value_kind:     hidden_group_size_y
      - .offset:         176
        .size:           2
        .value_kind:     hidden_group_size_z
      - .offset:         178
        .size:           2
        .value_kind:     hidden_remainder_x
      - .offset:         180
        .size:           2
        .value_kind:     hidden_remainder_y
      - .offset:         182
        .size:           2
        .value_kind:     hidden_remainder_z
      - .offset:         200
        .size:           8
        .value_kind:     hidden_global_offset_x
      - .offset:         208
        .size:           8
        .value_kind:     hidden_global_offset_y
      - .offset:         216
        .size:           8
        .value_kind:     hidden_global_offset_z
      - .offset:         224
        .size:           2
        .value_kind:     hidden_grid_dims
    .group_segment_fixed_size: 0
    .kernarg_segment_align: 8
    .kernarg_segment_size: 416
    .language:       OpenCL C
    .language_version:
      - 2
      - 0
    .max_flat_workgroup_size: 1024
    .name:           _ZN2at6native12_GLOBAL__N_128upsample_bicubic2d_out_frameIffEEviT0_S3_bN5torch10headeronly6detail27GenericPackedTensorAccessorINS6_14TensorAccessorIN3c108ArrayRefIlEEKT_Lm3ENS5_16DefaultPtrTraitsElEENS_6detail16IndexBoundsCheckILm4ElEESD_Lm4ESE_lEENS7_INS8_ISB_SC_Lm3ESE_lEESI_SC_Lm4ESE_lEE
    .private_segment_fixed_size: 0
    .sgpr_count:     33
    .sgpr_spill_count: 0
    .symbol:         _ZN2at6native12_GLOBAL__N_128upsample_bicubic2d_out_frameIffEEviT0_S3_bN5torch10headeronly6detail27GenericPackedTensorAccessorINS6_14TensorAccessorIN3c108ArrayRefIlEEKT_Lm3ENS5_16DefaultPtrTraitsElEENS_6detail16IndexBoundsCheckILm4ElEESD_Lm4ESE_lEENS7_INS8_ISB_SC_Lm3ESE_lEESI_SC_Lm4ESE_lEE.kd
    .uniform_work_group_size: 1
    .uses_dynamic_stack: false
    .vgpr_count:     78
    .vgpr_spill_count: 0
    .wavefront_size: 32
    .workgroup_processor_mode: 1
  - .args:
      - .offset:         0
        .size:           4
        .value_kind:     by_value
      - .offset:         4
        .size:           4
        .value_kind:     by_value
      - .offset:         8
        .size:           4
        .value_kind:     by_value
      - .offset:         12
        .size:           1
        .value_kind:     by_value
      - .offset:         16
        .size:           72
        .value_kind:     by_value
      - .offset:         88
        .size:           72
        .value_kind:     by_value
      - .offset:         160
        .size:           4
        .value_kind:     hidden_block_count_x
      - .offset:         164
        .size:           4
        .value_kind:     hidden_block_count_y
      - .offset:         168
        .size:           4
        .value_kind:     hidden_block_count_z
      - .offset:         172
        .size:           2
        .value_kind:     hidden_group_size_x
      - .offset:         174
        .size:           2
        .value_kind:     hidden_group_size_y
      - .offset:         176
        .size:           2
        .value_kind:     hidden_group_size_z
      - .offset:         178
        .size:           2
        .value_kind:     hidden_remainder_x
      - .offset:         180
        .size:           2
        .value_kind:     hidden_remainder_y
      - .offset:         182
        .size:           2
        .value_kind:     hidden_remainder_z
      - .offset:         200
        .size:           8
        .value_kind:     hidden_global_offset_x
      - .offset:         208
        .size:           8
        .value_kind:     hidden_global_offset_y
      - .offset:         216
        .size:           8
        .value_kind:     hidden_global_offset_z
      - .offset:         224
        .size:           2
        .value_kind:     hidden_grid_dims
    .group_segment_fixed_size: 0
    .kernarg_segment_align: 8
    .kernarg_segment_size: 416
    .language:       OpenCL C
    .language_version:
      - 2
      - 0
    .max_flat_workgroup_size: 1024
    .name:           _ZN2at6native12_GLOBAL__N_137upsample_bicubic2d_out_frame_parallelIN3c104HalfEfEEviT0_S5_bN5torch10headeronly6detail27GenericPackedTensorAccessorINS8_14TensorAccessorINS3_8ArrayRefIlEEKT_Lm3ENS7_16DefaultPtrTraitsElEENS_6detail16IndexBoundsCheckILm4ElEESE_Lm4ESF_lEENS9_INSA_ISC_SD_Lm3ESF_lEESJ_SD_Lm4ESF_lEE
    .private_segment_fixed_size: 0
    .sgpr_count:     48
    .sgpr_spill_count: 0
    .symbol:         _ZN2at6native12_GLOBAL__N_137upsample_bicubic2d_out_frame_parallelIN3c104HalfEfEEviT0_S5_bN5torch10headeronly6detail27GenericPackedTensorAccessorINS8_14TensorAccessorINS3_8ArrayRefIlEEKT_Lm3ENS7_16DefaultPtrTraitsElEENS_6detail16IndexBoundsCheckILm4ElEESE_Lm4ESF_lEENS9_INSA_ISC_SD_Lm3ESF_lEESJ_SD_Lm4ESF_lEE.kd
    .uniform_work_group_size: 1
    .uses_dynamic_stack: false
    .vgpr_count:     61
    .vgpr_spill_count: 0
    .wavefront_size: 32
    .workgroup_processor_mode: 1
  - .args:
      - .offset:         0
        .size:           4
        .value_kind:     by_value
      - .offset:         4
        .size:           4
        .value_kind:     by_value
      - .offset:         8
        .size:           4
        .value_kind:     by_value
      - .offset:         12
        .size:           1
        .value_kind:     by_value
      - .offset:         16
        .size:           72
        .value_kind:     by_value
      - .offset:         88
        .size:           72
        .value_kind:     by_value
      - .offset:         160
        .size:           4
        .value_kind:     hidden_block_count_x
      - .offset:         164
        .size:           4
        .value_kind:     hidden_block_count_y
      - .offset:         168
        .size:           4
        .value_kind:     hidden_block_count_z
      - .offset:         172
        .size:           2
        .value_kind:     hidden_group_size_x
      - .offset:         174
        .size:           2
        .value_kind:     hidden_group_size_y
      - .offset:         176
        .size:           2
        .value_kind:     hidden_group_size_z
      - .offset:         178
        .size:           2
        .value_kind:     hidden_remainder_x
      - .offset:         180
        .size:           2
        .value_kind:     hidden_remainder_y
      - .offset:         182
        .size:           2
        .value_kind:     hidden_remainder_z
      - .offset:         200
        .size:           8
        .value_kind:     hidden_global_offset_x
      - .offset:         208
        .size:           8
        .value_kind:     hidden_global_offset_y
      - .offset:         216
        .size:           8
        .value_kind:     hidden_global_offset_z
      - .offset:         224
        .size:           2
        .value_kind:     hidden_grid_dims
    .group_segment_fixed_size: 0
    .kernarg_segment_align: 8
    .kernarg_segment_size: 416
    .language:       OpenCL C
    .language_version:
      - 2
      - 0
    .max_flat_workgroup_size: 1024
    .name:           _ZN2at6native12_GLOBAL__N_128upsample_bicubic2d_out_frameIN3c104HalfEfEEviT0_S5_bN5torch10headeronly6detail27GenericPackedTensorAccessorINS8_14TensorAccessorINS3_8ArrayRefIlEEKT_Lm3ENS7_16DefaultPtrTraitsElEENS_6detail16IndexBoundsCheckILm4ElEESE_Lm4ESF_lEENS9_INSA_ISC_SD_Lm3ESF_lEESJ_SD_Lm4ESF_lEE
    .private_segment_fixed_size: 0
    .sgpr_count:     33
    .sgpr_spill_count: 0
    .symbol:         _ZN2at6native12_GLOBAL__N_128upsample_bicubic2d_out_frameIN3c104HalfEfEEviT0_S5_bN5torch10headeronly6detail27GenericPackedTensorAccessorINS8_14TensorAccessorINS3_8ArrayRefIlEEKT_Lm3ENS7_16DefaultPtrTraitsElEENS_6detail16IndexBoundsCheckILm4ElEESE_Lm4ESF_lEENS9_INSA_ISC_SD_Lm3ESF_lEESJ_SD_Lm4ESF_lEE.kd
    .uniform_work_group_size: 1
    .uses_dynamic_stack: false
    .vgpr_count:     78
    .vgpr_spill_count: 0
    .wavefront_size: 32
    .workgroup_processor_mode: 1
  - .args:
      - .offset:         0
        .size:           4
        .value_kind:     by_value
      - .offset:         4
        .size:           4
        .value_kind:     by_value
      - .offset:         8
        .size:           4
        .value_kind:     by_value
      - .offset:         12
        .size:           1
        .value_kind:     by_value
      - .offset:         16
        .size:           72
        .value_kind:     by_value
      - .offset:         88
        .size:           72
        .value_kind:     by_value
      - .offset:         160
        .size:           4
        .value_kind:     hidden_block_count_x
      - .offset:         164
        .size:           4
        .value_kind:     hidden_block_count_y
      - .offset:         168
        .size:           4
        .value_kind:     hidden_block_count_z
      - .offset:         172
        .size:           2
        .value_kind:     hidden_group_size_x
      - .offset:         174
        .size:           2
        .value_kind:     hidden_group_size_y
      - .offset:         176
        .size:           2
        .value_kind:     hidden_group_size_z
      - .offset:         178
        .size:           2
        .value_kind:     hidden_remainder_x
      - .offset:         180
        .size:           2
        .value_kind:     hidden_remainder_y
      - .offset:         182
        .size:           2
        .value_kind:     hidden_remainder_z
      - .offset:         200
        .size:           8
        .value_kind:     hidden_global_offset_x
      - .offset:         208
        .size:           8
        .value_kind:     hidden_global_offset_y
      - .offset:         216
        .size:           8
        .value_kind:     hidden_global_offset_z
      - .offset:         224
        .size:           2
        .value_kind:     hidden_grid_dims
    .group_segment_fixed_size: 0
    .kernarg_segment_align: 8
    .kernarg_segment_size: 416
    .language:       OpenCL C
    .language_version:
      - 2
      - 0
    .max_flat_workgroup_size: 1024
    .name:           _ZN2at6native12_GLOBAL__N_137upsample_bicubic2d_out_frame_parallelIN3c108BFloat16EfEEviT0_S5_bN5torch10headeronly6detail27GenericPackedTensorAccessorINS8_14TensorAccessorINS3_8ArrayRefIlEEKT_Lm3ENS7_16DefaultPtrTraitsElEENS_6detail16IndexBoundsCheckILm4ElEESE_Lm4ESF_lEENS9_INSA_ISC_SD_Lm3ESF_lEESJ_SD_Lm4ESF_lEE
    .private_segment_fixed_size: 0
    .sgpr_count:     48
    .sgpr_spill_count: 0
    .symbol:         _ZN2at6native12_GLOBAL__N_137upsample_bicubic2d_out_frame_parallelIN3c108BFloat16EfEEviT0_S5_bN5torch10headeronly6detail27GenericPackedTensorAccessorINS8_14TensorAccessorINS3_8ArrayRefIlEEKT_Lm3ENS7_16DefaultPtrTraitsElEENS_6detail16IndexBoundsCheckILm4ElEESE_Lm4ESF_lEENS9_INSA_ISC_SD_Lm3ESF_lEESJ_SD_Lm4ESF_lEE.kd
    .uniform_work_group_size: 1
    .uses_dynamic_stack: false
    .vgpr_count:     62
    .vgpr_spill_count: 0
    .wavefront_size: 32
    .workgroup_processor_mode: 1
  - .args:
      - .offset:         0
        .size:           4
        .value_kind:     by_value
      - .offset:         4
        .size:           4
        .value_kind:     by_value
      - .offset:         8
        .size:           4
        .value_kind:     by_value
      - .offset:         12
        .size:           1
        .value_kind:     by_value
      - .offset:         16
        .size:           72
        .value_kind:     by_value
      - .offset:         88
        .size:           72
        .value_kind:     by_value
      - .offset:         160
        .size:           4
        .value_kind:     hidden_block_count_x
      - .offset:         164
        .size:           4
        .value_kind:     hidden_block_count_y
      - .offset:         168
        .size:           4
        .value_kind:     hidden_block_count_z
      - .offset:         172
        .size:           2
        .value_kind:     hidden_group_size_x
      - .offset:         174
        .size:           2
        .value_kind:     hidden_group_size_y
      - .offset:         176
        .size:           2
        .value_kind:     hidden_group_size_z
      - .offset:         178
        .size:           2
        .value_kind:     hidden_remainder_x
      - .offset:         180
        .size:           2
        .value_kind:     hidden_remainder_y
      - .offset:         182
        .size:           2
        .value_kind:     hidden_remainder_z
      - .offset:         200
        .size:           8
        .value_kind:     hidden_global_offset_x
      - .offset:         208
        .size:           8
        .value_kind:     hidden_global_offset_y
      - .offset:         216
        .size:           8
        .value_kind:     hidden_global_offset_z
      - .offset:         224
        .size:           2
        .value_kind:     hidden_grid_dims
    .group_segment_fixed_size: 0
    .kernarg_segment_align: 8
    .kernarg_segment_size: 416
    .language:       OpenCL C
    .language_version:
      - 2
      - 0
    .max_flat_workgroup_size: 1024
    .name:           _ZN2at6native12_GLOBAL__N_128upsample_bicubic2d_out_frameIN3c108BFloat16EfEEviT0_S5_bN5torch10headeronly6detail27GenericPackedTensorAccessorINS8_14TensorAccessorINS3_8ArrayRefIlEEKT_Lm3ENS7_16DefaultPtrTraitsElEENS_6detail16IndexBoundsCheckILm4ElEESE_Lm4ESF_lEENS9_INSA_ISC_SD_Lm3ESF_lEESJ_SD_Lm4ESF_lEE
    .private_segment_fixed_size: 0
    .sgpr_count:     33
    .sgpr_spill_count: 0
    .symbol:         _ZN2at6native12_GLOBAL__N_128upsample_bicubic2d_out_frameIN3c108BFloat16EfEEviT0_S5_bN5torch10headeronly6detail27GenericPackedTensorAccessorINS8_14TensorAccessorINS3_8ArrayRefIlEEKT_Lm3ENS7_16DefaultPtrTraitsElEENS_6detail16IndexBoundsCheckILm4ElEESE_Lm4ESF_lEENS9_INSA_ISC_SD_Lm3ESF_lEESJ_SD_Lm4ESF_lEE.kd
    .uniform_work_group_size: 1
    .uses_dynamic_stack: false
    .vgpr_count:     78
    .vgpr_spill_count: 0
    .wavefront_size: 32
    .workgroup_processor_mode: 1
  - .args:
      - .offset:         0
        .size:           4
        .value_kind:     by_value
      - .offset:         8
        .size:           8
        .value_kind:     by_value
      - .offset:         16
        .size:           8
        .value_kind:     by_value
      - .offset:         24
        .size:           1
        .value_kind:     by_value
      - .offset:         32
        .size:           72
        .value_kind:     by_value
      - .offset:         104
        .size:           72
        .value_kind:     by_value
      - .offset:         176
        .size:           4
        .value_kind:     hidden_block_count_x
      - .offset:         180
        .size:           4
        .value_kind:     hidden_block_count_y
      - .offset:         184
        .size:           4
        .value_kind:     hidden_block_count_z
      - .offset:         188
        .size:           2
        .value_kind:     hidden_group_size_x
      - .offset:         190
        .size:           2
        .value_kind:     hidden_group_size_y
      - .offset:         192
        .size:           2
        .value_kind:     hidden_group_size_z
      - .offset:         194
        .size:           2
        .value_kind:     hidden_remainder_x
      - .offset:         196
        .size:           2
        .value_kind:     hidden_remainder_y
      - .offset:         198
        .size:           2
        .value_kind:     hidden_remainder_z
      - .offset:         216
        .size:           8
        .value_kind:     hidden_global_offset_x
      - .offset:         224
        .size:           8
        .value_kind:     hidden_global_offset_y
      - .offset:         232
        .size:           8
        .value_kind:     hidden_global_offset_z
      - .offset:         240
        .size:           2
        .value_kind:     hidden_grid_dims
    .group_segment_fixed_size: 0
    .kernarg_segment_align: 8
    .kernarg_segment_size: 432
    .language:       OpenCL C
    .language_version:
      - 2
      - 0
    .max_flat_workgroup_size: 1024
    .name:           _ZN2at6native12_GLOBAL__N_137upsample_bicubic2d_backward_out_frameIddEEviT0_S3_bN5torch10headeronly6detail27GenericPackedTensorAccessorINS6_14TensorAccessorIN3c108ArrayRefIlEET_Lm3ENS5_16DefaultPtrTraitsElEENS_6detail16IndexBoundsCheckILm4ElEESC_Lm4ESD_lEENS7_INS8_ISB_KSC_Lm3ESD_lEESH_SJ_Lm4ESD_lEE
    .private_segment_fixed_size: 0
    .sgpr_count:     28
    .sgpr_spill_count: 0
    .symbol:         _ZN2at6native12_GLOBAL__N_137upsample_bicubic2d_backward_out_frameIddEEviT0_S3_bN5torch10headeronly6detail27GenericPackedTensorAccessorINS6_14TensorAccessorIN3c108ArrayRefIlEET_Lm3ENS5_16DefaultPtrTraitsElEENS_6detail16IndexBoundsCheckILm4ElEESC_Lm4ESD_lEENS7_INS8_ISB_KSC_Lm3ESD_lEESH_SJ_Lm4ESD_lEE.kd
    .uniform_work_group_size: 1
    .uses_dynamic_stack: false
    .vgpr_count:     64
    .vgpr_spill_count: 0
    .wavefront_size: 32
    .workgroup_processor_mode: 1
  - .args:
      - .offset:         0
        .size:           4
        .value_kind:     by_value
      - .offset:         4
        .size:           4
        .value_kind:     by_value
      - .offset:         8
        .size:           4
        .value_kind:     by_value
      - .offset:         12
        .size:           1
        .value_kind:     by_value
      - .offset:         16
        .size:           72
        .value_kind:     by_value
      - .offset:         88
        .size:           72
        .value_kind:     by_value
      - .offset:         160
        .size:           4
        .value_kind:     hidden_block_count_x
      - .offset:         164
        .size:           4
        .value_kind:     hidden_block_count_y
      - .offset:         168
        .size:           4
        .value_kind:     hidden_block_count_z
      - .offset:         172
        .size:           2
        .value_kind:     hidden_group_size_x
      - .offset:         174
        .size:           2
        .value_kind:     hidden_group_size_y
      - .offset:         176
        .size:           2
        .value_kind:     hidden_group_size_z
      - .offset:         178
        .size:           2
        .value_kind:     hidden_remainder_x
      - .offset:         180
        .size:           2
        .value_kind:     hidden_remainder_y
      - .offset:         182
        .size:           2
        .value_kind:     hidden_remainder_z
      - .offset:         200
        .size:           8
        .value_kind:     hidden_global_offset_x
      - .offset:         208
        .size:           8
        .value_kind:     hidden_global_offset_y
      - .offset:         216
        .size:           8
        .value_kind:     hidden_global_offset_z
      - .offset:         224
        .size:           2
        .value_kind:     hidden_grid_dims
    .group_segment_fixed_size: 0
    .kernarg_segment_align: 8
    .kernarg_segment_size: 416
    .language:       OpenCL C
    .language_version:
      - 2
      - 0
    .max_flat_workgroup_size: 1024
    .name:           _ZN2at6native12_GLOBAL__N_137upsample_bicubic2d_backward_out_frameIffEEviT0_S3_bN5torch10headeronly6detail27GenericPackedTensorAccessorINS6_14TensorAccessorIN3c108ArrayRefIlEET_Lm3ENS5_16DefaultPtrTraitsElEENS_6detail16IndexBoundsCheckILm4ElEESC_Lm4ESD_lEENS7_INS8_ISB_KSC_Lm3ESD_lEESH_SJ_Lm4ESD_lEE
    .private_segment_fixed_size: 0
    .sgpr_count:     30
    .sgpr_spill_count: 0
    .symbol:         _ZN2at6native12_GLOBAL__N_137upsample_bicubic2d_backward_out_frameIffEEviT0_S3_bN5torch10headeronly6detail27GenericPackedTensorAccessorINS6_14TensorAccessorIN3c108ArrayRefIlEET_Lm3ENS5_16DefaultPtrTraitsElEENS_6detail16IndexBoundsCheckILm4ElEESC_Lm4ESD_lEENS7_INS8_ISB_KSC_Lm3ESD_lEESH_SJ_Lm4ESD_lEE.kd
    .uniform_work_group_size: 1
    .uses_dynamic_stack: false
    .vgpr_count:     41
    .vgpr_spill_count: 0
    .wavefront_size: 32
    .workgroup_processor_mode: 1
  - .args:
      - .offset:         0
        .size:           4
        .value_kind:     by_value
      - .offset:         4
        .size:           4
        .value_kind:     by_value
      - .offset:         8
        .size:           4
        .value_kind:     by_value
      - .offset:         12
        .size:           1
        .value_kind:     by_value
      - .offset:         16
        .size:           72
        .value_kind:     by_value
      - .offset:         88
        .size:           72
        .value_kind:     by_value
      - .offset:         160
        .size:           4
        .value_kind:     hidden_block_count_x
      - .offset:         164
        .size:           4
        .value_kind:     hidden_block_count_y
      - .offset:         168
        .size:           4
        .value_kind:     hidden_block_count_z
      - .offset:         172
        .size:           2
        .value_kind:     hidden_group_size_x
      - .offset:         174
        .size:           2
        .value_kind:     hidden_group_size_y
      - .offset:         176
        .size:           2
        .value_kind:     hidden_group_size_z
      - .offset:         178
        .size:           2
        .value_kind:     hidden_remainder_x
      - .offset:         180
        .size:           2
        .value_kind:     hidden_remainder_y
      - .offset:         182
        .size:           2
        .value_kind:     hidden_remainder_z
      - .offset:         200
        .size:           8
        .value_kind:     hidden_global_offset_x
      - .offset:         208
        .size:           8
        .value_kind:     hidden_global_offset_y
      - .offset:         216
        .size:           8
        .value_kind:     hidden_global_offset_z
      - .offset:         224
        .size:           2
        .value_kind:     hidden_grid_dims
    .group_segment_fixed_size: 0
    .kernarg_segment_align: 8
    .kernarg_segment_size: 416
    .language:       OpenCL C
    .language_version:
      - 2
      - 0
    .max_flat_workgroup_size: 1024
    .name:           _ZN2at6native12_GLOBAL__N_137upsample_bicubic2d_backward_out_frameIN3c104HalfEfEEviT0_S5_bN5torch10headeronly6detail27GenericPackedTensorAccessorINS8_14TensorAccessorINS3_8ArrayRefIlEET_Lm3ENS7_16DefaultPtrTraitsElEENS_6detail16IndexBoundsCheckILm4ElEESD_Lm4ESE_lEENS9_INSA_ISC_KSD_Lm3ESE_lEESI_SK_Lm4ESE_lEE
    .private_segment_fixed_size: 0
    .sgpr_count:     30
    .sgpr_spill_count: 0
    .symbol:         _ZN2at6native12_GLOBAL__N_137upsample_bicubic2d_backward_out_frameIN3c104HalfEfEEviT0_S5_bN5torch10headeronly6detail27GenericPackedTensorAccessorINS8_14TensorAccessorINS3_8ArrayRefIlEET_Lm3ENS7_16DefaultPtrTraitsElEENS_6detail16IndexBoundsCheckILm4ElEESD_Lm4ESE_lEENS9_INSA_ISC_KSD_Lm3ESE_lEESI_SK_Lm4ESE_lEE.kd
    .uniform_work_group_size: 1
    .uses_dynamic_stack: false
    .vgpr_count:     34
    .vgpr_spill_count: 0
    .wavefront_size: 32
    .workgroup_processor_mode: 1
  - .args:
      - .offset:         0
        .size:           4
        .value_kind:     by_value
      - .offset:         4
        .size:           4
        .value_kind:     by_value
      - .offset:         8
        .size:           4
        .value_kind:     by_value
      - .offset:         12
        .size:           1
        .value_kind:     by_value
      - .offset:         16
        .size:           72
        .value_kind:     by_value
      - .offset:         88
        .size:           72
        .value_kind:     by_value
      - .offset:         160
        .size:           4
        .value_kind:     hidden_block_count_x
      - .offset:         164
        .size:           4
        .value_kind:     hidden_block_count_y
      - .offset:         168
        .size:           4
        .value_kind:     hidden_block_count_z
      - .offset:         172
        .size:           2
        .value_kind:     hidden_group_size_x
      - .offset:         174
        .size:           2
        .value_kind:     hidden_group_size_y
      - .offset:         176
        .size:           2
        .value_kind:     hidden_group_size_z
      - .offset:         178
        .size:           2
        .value_kind:     hidden_remainder_x
      - .offset:         180
        .size:           2
        .value_kind:     hidden_remainder_y
      - .offset:         182
        .size:           2
        .value_kind:     hidden_remainder_z
      - .offset:         200
        .size:           8
        .value_kind:     hidden_global_offset_x
      - .offset:         208
        .size:           8
        .value_kind:     hidden_global_offset_y
      - .offset:         216
        .size:           8
        .value_kind:     hidden_global_offset_z
      - .offset:         224
        .size:           2
        .value_kind:     hidden_grid_dims
    .group_segment_fixed_size: 0
    .kernarg_segment_align: 8
    .kernarg_segment_size: 416
    .language:       OpenCL C
    .language_version:
      - 2
      - 0
    .max_flat_workgroup_size: 1024
    .name:           _ZN2at6native12_GLOBAL__N_137upsample_bicubic2d_backward_out_frameIN3c108BFloat16EfEEviT0_S5_bN5torch10headeronly6detail27GenericPackedTensorAccessorINS8_14TensorAccessorINS3_8ArrayRefIlEET_Lm3ENS7_16DefaultPtrTraitsElEENS_6detail16IndexBoundsCheckILm4ElEESD_Lm4ESE_lEENS9_INSA_ISC_KSD_Lm3ESE_lEESI_SK_Lm4ESE_lEE
    .private_segment_fixed_size: 0
    .sgpr_count:     30
    .sgpr_spill_count: 0
    .symbol:         _ZN2at6native12_GLOBAL__N_137upsample_bicubic2d_backward_out_frameIN3c108BFloat16EfEEviT0_S5_bN5torch10headeronly6detail27GenericPackedTensorAccessorINS8_14TensorAccessorINS3_8ArrayRefIlEET_Lm3ENS7_16DefaultPtrTraitsElEENS_6detail16IndexBoundsCheckILm4ElEESD_Lm4ESE_lEENS9_INSA_ISC_KSD_Lm3ESE_lEESI_SK_Lm4ESE_lEE.kd
    .uniform_work_group_size: 1
    .uses_dynamic_stack: false
    .vgpr_count:     34
    .vgpr_spill_count: 0
    .wavefront_size: 32
    .workgroup_processor_mode: 1
amdhsa.target:   amdgcn-amd-amdhsa--gfx1100
amdhsa.version:
  - 1
  - 2
...

	.end_amdgpu_metadata
